;; amdgpu-corpus repo=ROCm/rocFFT kind=compiled arch=gfx906 opt=O3
	.text
	.amdgcn_target "amdgcn-amd-amdhsa--gfx906"
	.amdhsa_code_object_version 6
	.protected	fft_rtc_fwd_len4050_factors_10_5_3_3_3_3_wgs_135_tpt_135_halfLds_half_ip_CI_sbrr_dirReg ; -- Begin function fft_rtc_fwd_len4050_factors_10_5_3_3_3_3_wgs_135_tpt_135_halfLds_half_ip_CI_sbrr_dirReg
	.globl	fft_rtc_fwd_len4050_factors_10_5_3_3_3_3_wgs_135_tpt_135_halfLds_half_ip_CI_sbrr_dirReg
	.p2align	8
	.type	fft_rtc_fwd_len4050_factors_10_5_3_3_3_3_wgs_135_tpt_135_halfLds_half_ip_CI_sbrr_dirReg,@function
fft_rtc_fwd_len4050_factors_10_5_3_3_3_3_wgs_135_tpt_135_halfLds_half_ip_CI_sbrr_dirReg: ; @fft_rtc_fwd_len4050_factors_10_5_3_3_3_3_wgs_135_tpt_135_halfLds_half_ip_CI_sbrr_dirReg
; %bb.0:
	s_load_dwordx2 s[14:15], s[4:5], 0x18
	s_load_dwordx4 s[8:11], s[4:5], 0x0
	s_load_dwordx2 s[12:13], s[4:5], 0x50
	v_mul_u32_u24_e32 v1, 0x1e6, v0
	v_add_u32_sdwa v5, s6, v1 dst_sel:DWORD dst_unused:UNUSED_PAD src0_sel:DWORD src1_sel:WORD_1
	s_waitcnt lgkmcnt(0)
	s_load_dwordx2 s[2:3], s[14:15], 0x0
	v_cmp_lt_u64_e64 s[0:1], s[10:11], 2
	v_mov_b32_e32 v3, 0
	v_mov_b32_e32 v1, 0
	;; [unrolled: 1-line block ×3, first 2 shown]
	s_and_b64 vcc, exec, s[0:1]
	v_mov_b32_e32 v2, 0
	s_cbranch_vccnz .LBB0_8
; %bb.1:
	s_load_dwordx2 s[0:1], s[4:5], 0x10
	s_add_u32 s6, s14, 8
	s_addc_u32 s7, s15, 0
	v_mov_b32_e32 v1, 0
	v_mov_b32_e32 v2, 0
	s_waitcnt lgkmcnt(0)
	s_add_u32 s16, s0, 8
	s_addc_u32 s17, s1, 0
	s_mov_b64 s[18:19], 1
.LBB0_2:                                ; =>This Inner Loop Header: Depth=1
	s_load_dwordx2 s[20:21], s[16:17], 0x0
                                        ; implicit-def: $vgpr7_vgpr8
	s_waitcnt lgkmcnt(0)
	v_or_b32_e32 v4, s21, v6
	v_cmp_ne_u64_e32 vcc, 0, v[3:4]
	s_and_saveexec_b64 s[0:1], vcc
	s_xor_b64 s[22:23], exec, s[0:1]
	s_cbranch_execz .LBB0_4
; %bb.3:                                ;   in Loop: Header=BB0_2 Depth=1
	v_cvt_f32_u32_e32 v4, s20
	v_cvt_f32_u32_e32 v7, s21
	s_sub_u32 s0, 0, s20
	s_subb_u32 s1, 0, s21
	v_mac_f32_e32 v4, 0x4f800000, v7
	v_rcp_f32_e32 v4, v4
	v_mul_f32_e32 v4, 0x5f7ffffc, v4
	v_mul_f32_e32 v7, 0x2f800000, v4
	v_trunc_f32_e32 v7, v7
	v_mac_f32_e32 v4, 0xcf800000, v7
	v_cvt_u32_f32_e32 v7, v7
	v_cvt_u32_f32_e32 v4, v4
	v_mul_lo_u32 v8, s0, v7
	v_mul_hi_u32 v9, s0, v4
	v_mul_lo_u32 v11, s1, v4
	v_mul_lo_u32 v10, s0, v4
	v_add_u32_e32 v8, v9, v8
	v_add_u32_e32 v8, v8, v11
	v_mul_hi_u32 v9, v4, v10
	v_mul_lo_u32 v11, v4, v8
	v_mul_hi_u32 v13, v4, v8
	v_mul_hi_u32 v12, v7, v10
	v_mul_lo_u32 v10, v7, v10
	v_mul_hi_u32 v14, v7, v8
	v_add_co_u32_e32 v9, vcc, v9, v11
	v_addc_co_u32_e32 v11, vcc, 0, v13, vcc
	v_mul_lo_u32 v8, v7, v8
	v_add_co_u32_e32 v9, vcc, v9, v10
	v_addc_co_u32_e32 v9, vcc, v11, v12, vcc
	v_addc_co_u32_e32 v10, vcc, 0, v14, vcc
	v_add_co_u32_e32 v8, vcc, v9, v8
	v_addc_co_u32_e32 v9, vcc, 0, v10, vcc
	v_add_co_u32_e32 v4, vcc, v4, v8
	v_addc_co_u32_e32 v7, vcc, v7, v9, vcc
	v_mul_lo_u32 v8, s0, v7
	v_mul_hi_u32 v9, s0, v4
	v_mul_lo_u32 v10, s1, v4
	v_mul_lo_u32 v11, s0, v4
	v_add_u32_e32 v8, v9, v8
	v_add_u32_e32 v8, v8, v10
	v_mul_lo_u32 v12, v4, v8
	v_mul_hi_u32 v13, v4, v11
	v_mul_hi_u32 v14, v4, v8
	;; [unrolled: 1-line block ×3, first 2 shown]
	v_mul_lo_u32 v11, v7, v11
	v_mul_hi_u32 v9, v7, v8
	v_add_co_u32_e32 v12, vcc, v13, v12
	v_addc_co_u32_e32 v13, vcc, 0, v14, vcc
	v_mul_lo_u32 v8, v7, v8
	v_add_co_u32_e32 v11, vcc, v12, v11
	v_addc_co_u32_e32 v10, vcc, v13, v10, vcc
	v_addc_co_u32_e32 v9, vcc, 0, v9, vcc
	v_add_co_u32_e32 v8, vcc, v10, v8
	v_addc_co_u32_e32 v9, vcc, 0, v9, vcc
	v_add_co_u32_e32 v4, vcc, v4, v8
	v_addc_co_u32_e32 v9, vcc, v7, v9, vcc
	v_mad_u64_u32 v[7:8], s[0:1], v5, v9, 0
	v_mul_hi_u32 v10, v5, v4
	v_add_co_u32_e32 v11, vcc, v10, v7
	v_addc_co_u32_e32 v12, vcc, 0, v8, vcc
	v_mad_u64_u32 v[7:8], s[0:1], v6, v4, 0
	v_mad_u64_u32 v[9:10], s[0:1], v6, v9, 0
	v_add_co_u32_e32 v4, vcc, v11, v7
	v_addc_co_u32_e32 v4, vcc, v12, v8, vcc
	v_addc_co_u32_e32 v7, vcc, 0, v10, vcc
	v_add_co_u32_e32 v4, vcc, v4, v9
	v_addc_co_u32_e32 v9, vcc, 0, v7, vcc
	v_mul_lo_u32 v10, s21, v4
	v_mul_lo_u32 v11, s20, v9
	v_mad_u64_u32 v[7:8], s[0:1], s20, v4, 0
	v_add3_u32 v8, v8, v11, v10
	v_sub_u32_e32 v10, v6, v8
	v_mov_b32_e32 v11, s21
	v_sub_co_u32_e32 v7, vcc, v5, v7
	v_subb_co_u32_e64 v10, s[0:1], v10, v11, vcc
	v_subrev_co_u32_e64 v11, s[0:1], s20, v7
	v_subbrev_co_u32_e64 v10, s[0:1], 0, v10, s[0:1]
	v_cmp_le_u32_e64 s[0:1], s21, v10
	v_cndmask_b32_e64 v12, 0, -1, s[0:1]
	v_cmp_le_u32_e64 s[0:1], s20, v11
	v_cndmask_b32_e64 v11, 0, -1, s[0:1]
	v_cmp_eq_u32_e64 s[0:1], s21, v10
	v_cndmask_b32_e64 v10, v12, v11, s[0:1]
	v_add_co_u32_e64 v11, s[0:1], 2, v4
	v_addc_co_u32_e64 v12, s[0:1], 0, v9, s[0:1]
	v_add_co_u32_e64 v13, s[0:1], 1, v4
	v_addc_co_u32_e64 v14, s[0:1], 0, v9, s[0:1]
	v_subb_co_u32_e32 v8, vcc, v6, v8, vcc
	v_cmp_ne_u32_e64 s[0:1], 0, v10
	v_cmp_le_u32_e32 vcc, s21, v8
	v_cndmask_b32_e64 v10, v14, v12, s[0:1]
	v_cndmask_b32_e64 v12, 0, -1, vcc
	v_cmp_le_u32_e32 vcc, s20, v7
	v_cndmask_b32_e64 v7, 0, -1, vcc
	v_cmp_eq_u32_e32 vcc, s21, v8
	v_cndmask_b32_e32 v7, v12, v7, vcc
	v_cmp_ne_u32_e32 vcc, 0, v7
	v_cndmask_b32_e64 v7, v13, v11, s[0:1]
	v_cndmask_b32_e32 v8, v9, v10, vcc
	v_cndmask_b32_e32 v7, v4, v7, vcc
.LBB0_4:                                ;   in Loop: Header=BB0_2 Depth=1
	s_andn2_saveexec_b64 s[0:1], s[22:23]
	s_cbranch_execz .LBB0_6
; %bb.5:                                ;   in Loop: Header=BB0_2 Depth=1
	v_cvt_f32_u32_e32 v4, s20
	s_sub_i32 s22, 0, s20
	v_rcp_iflag_f32_e32 v4, v4
	v_mul_f32_e32 v4, 0x4f7ffffe, v4
	v_cvt_u32_f32_e32 v4, v4
	v_mul_lo_u32 v7, s22, v4
	v_mul_hi_u32 v7, v4, v7
	v_add_u32_e32 v4, v4, v7
	v_mul_hi_u32 v4, v5, v4
	v_mul_lo_u32 v7, v4, s20
	v_add_u32_e32 v8, 1, v4
	v_sub_u32_e32 v7, v5, v7
	v_subrev_u32_e32 v9, s20, v7
	v_cmp_le_u32_e32 vcc, s20, v7
	v_cndmask_b32_e32 v7, v7, v9, vcc
	v_cndmask_b32_e32 v4, v4, v8, vcc
	v_add_u32_e32 v8, 1, v4
	v_cmp_le_u32_e32 vcc, s20, v7
	v_cndmask_b32_e32 v7, v4, v8, vcc
	v_mov_b32_e32 v8, v3
.LBB0_6:                                ;   in Loop: Header=BB0_2 Depth=1
	s_or_b64 exec, exec, s[0:1]
	v_mul_lo_u32 v4, v8, s20
	v_mul_lo_u32 v11, v7, s21
	v_mad_u64_u32 v[9:10], s[0:1], v7, s20, 0
	s_load_dwordx2 s[0:1], s[6:7], 0x0
	s_add_u32 s18, s18, 1
	v_add3_u32 v4, v10, v11, v4
	v_sub_co_u32_e32 v5, vcc, v5, v9
	v_subb_co_u32_e32 v4, vcc, v6, v4, vcc
	s_waitcnt lgkmcnt(0)
	v_mul_lo_u32 v4, s0, v4
	v_mul_lo_u32 v6, s1, v5
	v_mad_u64_u32 v[1:2], s[0:1], s0, v5, v[1:2]
	s_addc_u32 s19, s19, 0
	s_add_u32 s6, s6, 8
	v_add3_u32 v2, v6, v2, v4
	v_mov_b32_e32 v4, s10
	v_mov_b32_e32 v5, s11
	s_addc_u32 s7, s7, 0
	v_cmp_ge_u64_e32 vcc, s[18:19], v[4:5]
	s_add_u32 s16, s16, 8
	s_addc_u32 s17, s17, 0
	s_cbranch_vccnz .LBB0_9
; %bb.7:                                ;   in Loop: Header=BB0_2 Depth=1
	v_mov_b32_e32 v5, v7
	v_mov_b32_e32 v6, v8
	s_branch .LBB0_2
.LBB0_8:
	v_mov_b32_e32 v8, v6
	v_mov_b32_e32 v7, v5
.LBB0_9:
	s_lshl_b64 s[0:1], s[10:11], 3
	s_add_u32 s0, s14, s0
	s_addc_u32 s1, s15, s1
	s_load_dwordx2 s[6:7], s[0:1], 0x0
	s_load_dwordx2 s[10:11], s[4:5], 0x20
                                        ; implicit-def: $vgpr18
                                        ; implicit-def: $vgpr20
                                        ; implicit-def: $vgpr14
                                        ; implicit-def: $vgpr13
                                        ; implicit-def: $vgpr15
                                        ; implicit-def: $vgpr16
                                        ; implicit-def: $vgpr19
                                        ; implicit-def: $vgpr21
                                        ; implicit-def: $vgpr17
	s_waitcnt lgkmcnt(0)
	v_mad_u64_u32 v[1:2], s[0:1], s6, v7, v[1:2]
	s_mov_b32 s0, 0x1e573ad
	v_mul_lo_u32 v3, s6, v8
	v_mul_lo_u32 v4, s7, v7
	v_mul_hi_u32 v5, v0, s0
	v_cmp_gt_u64_e32 vcc, s[10:11], v[7:8]
	v_cmp_le_u64_e64 s[0:1], s[10:11], v[7:8]
	v_add3_u32 v2, v4, v2, v3
	v_mul_u32_u24_e32 v3, 0x87, v5
	v_sub_u32_e32 v12, v0, v3
	s_and_saveexec_b64 s[4:5], s[0:1]
	s_xor_b64 s[0:1], exec, s[4:5]
; %bb.10:
	v_add_u32_e32 v18, 0x87, v12
	v_add_u32_e32 v20, 0x10e, v12
	v_add_u32_e32 v14, 0x32a, v12
	v_add_u32_e32 v13, 0x195, v12
	v_add_u32_e32 v15, 0x21c, v12
	v_add_u32_e32 v16, 0x2a3, v12
	v_add_u32_e32 v19, 0x3b1, v12
	v_add_u32_e32 v21, 0x438, v12
	v_add_u32_e32 v17, 0x4bf, v12
; %bb.11:
	s_or_saveexec_b64 s[4:5], s[0:1]
	v_lshlrev_b64 v[0:1], 2, v[1:2]
                                        ; implicit-def: $vgpr40
                                        ; implicit-def: $vgpr39
                                        ; implicit-def: $vgpr41
                                        ; implicit-def: $vgpr37
                                        ; implicit-def: $vgpr42
                                        ; implicit-def: $vgpr29
                                        ; implicit-def: $vgpr44
                                        ; implicit-def: $vgpr27
                                        ; implicit-def: $vgpr45
                                        ; implicit-def: $vgpr22
                                        ; implicit-def: $vgpr51
                                        ; implicit-def: $vgpr50
                                        ; implicit-def: $vgpr52
                                        ; implicit-def: $vgpr8
                                        ; implicit-def: $vgpr53
                                        ; implicit-def: $vgpr23
                                        ; implicit-def: $vgpr54
                                        ; implicit-def: $vgpr26
                                        ; implicit-def: $vgpr55
                                        ; implicit-def: $vgpr4
                                        ; implicit-def: $vgpr33
                                        ; implicit-def: $vgpr32
                                        ; implicit-def: $vgpr34
                                        ; implicit-def: $vgpr28
                                        ; implicit-def: $vgpr46
                                        ; implicit-def: $vgpr30
                                        ; implicit-def: $vgpr47
                                        ; implicit-def: $vgpr31
                                        ; implicit-def: $vgpr56
                                        ; implicit-def: $vgpr2
                                        ; implicit-def: $vgpr36
                                        ; implicit-def: $vgpr35
                                        ; implicit-def: $vgpr38
                                        ; implicit-def: $vgpr25
                                        ; implicit-def: $vgpr43
                                        ; implicit-def: $vgpr49
                                        ; implicit-def: $vgpr24
                                        ; implicit-def: $vgpr10
                                        ; implicit-def: $vgpr11
                                        ; implicit-def: $vgpr48
                                        ; implicit-def: $vgpr3
                                        ; implicit-def: $vgpr9
                                        ; implicit-def: $vgpr6
                                        ; implicit-def: $vgpr7
                                        ; implicit-def: $vgpr5
	s_xor_b64 exec, exec, s[4:5]
	s_cbranch_execz .LBB0_13
; %bb.12:
	v_mad_u64_u32 v[2:3], s[0:1], s2, v12, 0
	v_add_u32_e32 v13, 0x195, v12
	v_add_u32_e32 v14, 0x32a, v12
	v_mad_u64_u32 v[3:4], s[0:1], s3, v12, v[3:4]
	v_mov_b32_e32 v4, s13
	v_add_co_u32_e64 v33, s[0:1], s12, v0
	v_addc_co_u32_e64 v34, s[0:1], v4, v1, s[0:1]
	v_mad_u64_u32 v[4:5], s[0:1], s2, v13, 0
	v_lshlrev_b64 v[2:3], 2, v[2:3]
	v_add_u32_e32 v17, 0x4bf, v12
	v_add_co_u32_e64 v2, s[0:1], v33, v2
	v_addc_co_u32_e64 v3, s[0:1], v34, v3, s[0:1]
	v_mad_u64_u32 v[5:6], s[0:1], s3, v13, v[5:6]
	v_mad_u64_u32 v[6:7], s[0:1], s2, v14, 0
	global_load_dword v2, v[2:3], off
	v_lshlrev_b64 v[3:4], 2, v[4:5]
	v_mov_b32_e32 v5, v7
	v_mad_u64_u32 v[7:8], s[0:1], s3, v14, v[5:6]
	v_mad_u64_u32 v[8:9], s[0:1], s2, v17, 0
	v_add_co_u32_e64 v10, s[0:1], v33, v3
	v_mov_b32_e32 v5, v9
	v_addc_co_u32_e64 v11, s[0:1], v34, v4, s[0:1]
	v_lshlrev_b64 v[3:4], 2, v[6:7]
	v_mad_u64_u32 v[5:6], s[0:1], s3, v17, v[5:6]
	v_add_u32_e32 v18, 0x654, v12
	v_mad_u64_u32 v[6:7], s[0:1], s2, v18, 0
	v_add_co_u32_e64 v15, s[0:1], v33, v3
	v_mov_b32_e32 v9, v5
	v_mov_b32_e32 v5, v7
	v_addc_co_u32_e64 v16, s[0:1], v34, v4, s[0:1]
	v_lshlrev_b64 v[3:4], 2, v[8:9]
	v_mad_u64_u32 v[7:8], s[0:1], s3, v18, v[5:6]
	v_add_u32_e32 v18, 0x7e9, v12
	v_mad_u64_u32 v[8:9], s[0:1], s2, v18, 0
	v_add_co_u32_e64 v19, s[0:1], v33, v3
	v_mov_b32_e32 v5, v9
	v_addc_co_u32_e64 v20, s[0:1], v34, v4, s[0:1]
	v_lshlrev_b64 v[3:4], 2, v[6:7]
	v_mad_u64_u32 v[5:6], s[0:1], s3, v18, v[5:6]
	v_add_u32_e32 v18, 0x97e, v12
	v_mad_u64_u32 v[6:7], s[0:1], s2, v18, 0
	v_add_co_u32_e64 v21, s[0:1], v33, v3
	v_mov_b32_e32 v9, v5
	v_mov_b32_e32 v5, v7
	v_addc_co_u32_e64 v22, s[0:1], v34, v4, s[0:1]
	v_lshlrev_b64 v[3:4], 2, v[8:9]
	v_mad_u64_u32 v[7:8], s[0:1], s3, v18, v[5:6]
	v_add_u32_e32 v18, 0xb13, v12
	;; [unrolled: 15-line block ×3, first 2 shown]
	v_mad_u64_u32 v[8:9], s[0:1], s2, v18, 0
	v_add_co_u32_e64 v29, s[0:1], v33, v3
	v_mov_b32_e32 v5, v9
	v_addc_co_u32_e64 v30, s[0:1], v34, v4, s[0:1]
	v_lshlrev_b64 v[3:4], 2, v[6:7]
	v_mad_u64_u32 v[5:6], s[0:1], s3, v18, v[5:6]
	v_add_co_u32_e64 v35, s[0:1], v33, v3
	v_mov_b32_e32 v9, v5
	v_addc_co_u32_e64 v36, s[0:1], v34, v4, s[0:1]
	v_lshlrev_b64 v[3:4], 2, v[8:9]
	v_add_u32_e32 v18, 0x87, v12
	v_add_co_u32_e64 v37, s[0:1], v33, v3
	v_addc_co_u32_e64 v38, s[0:1], v34, v4, s[0:1]
	v_mad_u64_u32 v[8:9], s[0:1], s2, v18, 0
	global_load_dword v3, v[29:30], off
	global_load_dword v28, v[25:26], off
	;; [unrolled: 1-line block ×3, first 2 shown]
	v_add_u32_e32 v26, 0xd2f, v12
	v_mov_b32_e32 v4, v9
	v_mad_u64_u32 v[4:5], s[0:1], s3, v18, v[4:5]
	global_load_dword v30, v[21:22], off
	global_load_dword v7, v[19:20], off
	;; [unrolled: 1-line block ×4, first 2 shown]
	v_add_u32_e32 v15, 0x21c, v12
	v_mad_u64_u32 v[10:11], s[0:1], s2, v15, 0
	v_mov_b32_e32 v9, v4
	v_lshlrev_b64 v[8:9], 2, v[8:9]
	v_mov_b32_e32 v4, v11
	v_add_co_u32_e64 v20, s[0:1], v33, v8
	v_addc_co_u32_e64 v21, s[0:1], v34, v9, s[0:1]
	v_add_u32_e32 v19, 0x3b1, v12
	v_mad_u64_u32 v[22:23], s[0:1], s2, v19, 0
	v_add_u32_e32 v16, 0x546, v12
	v_mad_u64_u32 v[24:25], s[0:1], s2, v16, 0
	s_waitcnt vmcnt(7)
	v_lshrrev_b32_e32 v56, 16, v2
	s_waitcnt vmcnt(0)
	v_mad_u64_u32 v[8:9], s[0:1], s3, v15, v[4:5]
	global_load_dword v32, v[35:36], off
	global_load_dword v9, v[37:38], off
	;; [unrolled: 1-line block ×3, first 2 shown]
	v_mov_b32_e32 v11, v8
	v_mov_b32_e32 v8, v23
	v_lshlrev_b64 v[10:11], 2, v[10:11]
	s_waitcnt vmcnt(1)
	v_mad_u64_u32 v[20:21], s[0:1], s3, v19, v[8:9]
	v_add_co_u32_e64 v35, s[0:1], v33, v10
	v_mov_b32_e32 v8, v25
	v_addc_co_u32_e64 v36, s[0:1], v34, v11, s[0:1]
	v_mov_b32_e32 v23, v20
	v_mad_u64_u32 v[20:21], s[0:1], s3, v16, v[8:9]
	v_add_u32_e32 v16, 0x6db, v12
	v_lshlrev_b64 v[10:11], 2, v[22:23]
	v_mad_u64_u32 v[21:22], s[0:1], s2, v16, 0
	v_add_co_u32_e64 v37, s[0:1], v33, v10
	v_mov_b32_e32 v8, v22
	v_addc_co_u32_e64 v38, s[0:1], v34, v11, s[0:1]
	v_mov_b32_e32 v25, v20
	v_mad_u64_u32 v[22:23], s[0:1], s3, v16, v[8:9]
	v_add_u32_e32 v16, 0x870, v12
	v_lshlrev_b64 v[10:11], 2, v[24:25]
	v_mad_u64_u32 v[23:24], s[0:1], s2, v16, 0
	v_add_co_u32_e64 v39, s[0:1], v33, v10
	v_mov_b32_e32 v8, v24
	v_addc_co_u32_e64 v40, s[0:1], v34, v11, s[0:1]
	v_lshlrev_b64 v[10:11], 2, v[21:22]
	v_mad_u64_u32 v[20:21], s[0:1], s3, v16, v[8:9]
	v_add_u32_e32 v16, 0xa05, v12
	v_mad_u64_u32 v[21:22], s[0:1], s2, v16, 0
	v_add_co_u32_e64 v41, s[0:1], v33, v10
	v_mov_b32_e32 v24, v20
	v_mov_b32_e32 v8, v22
	v_addc_co_u32_e64 v42, s[0:1], v34, v11, s[0:1]
	v_lshlrev_b64 v[10:11], 2, v[23:24]
	v_mad_u64_u32 v[22:23], s[0:1], s3, v16, v[8:9]
	v_add_co_u32_e64 v10, s[0:1], v33, v10
	v_add_u32_e32 v16, 0xb9a, v12
	v_addc_co_u32_e64 v11, s[0:1], v34, v11, s[0:1]
	v_lshlrev_b64 v[20:21], 2, v[21:22]
	v_mad_u64_u32 v[22:23], s[0:1], s2, v16, 0
	v_add_co_u32_e64 v20, s[0:1], v33, v20
	v_mov_b32_e32 v8, v23
	v_addc_co_u32_e64 v21, s[0:1], v34, v21, s[0:1]
	v_mad_u64_u32 v[23:24], s[0:1], s3, v16, v[8:9]
	v_mad_u64_u32 v[24:25], s[0:1], s2, v26, 0
	global_load_dword v8, v[20:21], off
	s_waitcnt vmcnt(1)
	v_lshrrev_b32_e32 v55, 16, v4
	global_load_dword v10, v[10:11], off
	v_mov_b32_e32 v16, v25
	v_lshlrev_b64 v[20:21], 2, v[22:23]
	v_mad_u64_u32 v[22:23], s[0:1], s3, v26, v[16:17]
	v_add_u32_e32 v23, 0xec4, v12
	v_mad_u64_u32 v[26:27], s[0:1], s2, v23, 0
	v_add_co_u32_e64 v44, s[0:1], v33, v20
	v_mov_b32_e32 v25, v22
	v_mov_b32_e32 v16, v27
	v_addc_co_u32_e64 v45, s[0:1], v34, v21, s[0:1]
	v_lshlrev_b64 v[20:21], 2, v[24:25]
	v_mad_u64_u32 v[22:23], s[0:1], s3, v23, v[16:17]
	v_add_co_u32_e64 v46, s[0:1], v33, v20
	v_add_u32_e32 v20, 0x10e, v12
	v_addc_co_u32_e64 v47, s[0:1], v34, v21, s[0:1]
	v_mad_u64_u32 v[24:25], s[0:1], s2, v20, 0
	v_mov_b32_e32 v27, v22
	v_lshlrev_b64 v[21:22], 2, v[26:27]
	v_mov_b32_e32 v11, v25
	v_add_co_u32_e64 v49, s[0:1], v33, v21
	v_addc_co_u32_e64 v50, s[0:1], v34, v22, s[0:1]
	v_mad_u64_u32 v[21:22], s[0:1], s3, v20, v[11:12]
	global_load_dword v23, v[41:42], off
	global_load_dword v11, v[39:40], off
	;; [unrolled: 1-line block ×4, first 2 shown]
	v_add_u32_e32 v16, 0x2a3, v12
	v_mad_u64_u32 v[35:36], s[0:1], s2, v16, 0
	v_mov_b32_e32 v25, v21
	v_lshlrev_b64 v[21:22], 2, v[24:25]
	v_add_u32_e32 v27, 0x5cd, v12
	v_add_co_u32_e64 v37, s[0:1], v33, v21
	v_mov_b32_e32 v21, v36
	v_addc_co_u32_e64 v38, s[0:1], v34, v22, s[0:1]
	v_mad_u64_u32 v[39:40], s[0:1], s3, v16, v[21:22]
	v_add_u32_e32 v21, 0x438, v12
	v_mad_u64_u32 v[40:41], s[0:1], s2, v21, 0
	global_load_dword v24, v[49:50], off
	global_load_dword v22, v[37:38], off
	v_mov_b32_e32 v36, v39
	v_mov_b32_e32 v25, v41
	v_lshlrev_b64 v[35:36], 2, v[35:36]
	s_waitcnt vmcnt(5)
	v_lshrrev_b32_e32 v53, 16, v23
	s_waitcnt vmcnt(3)
	v_mad_u64_u32 v[37:38], s[0:1], s3, v21, v[25:26]
	v_mad_u64_u32 v[38:39], s[0:1], s2, v27, 0
	v_add_co_u32_e64 v35, s[0:1], v33, v35
	v_mov_b32_e32 v41, v37
	v_mov_b32_e32 v25, v39
	v_addc_co_u32_e64 v36, s[0:1], v34, v36, s[0:1]
	v_lshlrev_b64 v[40:41], 2, v[40:41]
	v_mad_u64_u32 v[42:43], s[0:1], s3, v27, v[25:26]
	v_add_co_u32_e64 v40, s[0:1], v33, v40
	v_add_u32_e32 v27, 0x762, v12
	v_addc_co_u32_e64 v41, s[0:1], v34, v41, s[0:1]
	v_mad_u64_u32 v[51:52], s[0:1], s2, v27, 0
	v_mov_b32_e32 v39, v42
	v_lshlrev_b64 v[37:38], 2, v[38:39]
	v_mov_b32_e32 v25, v52
	v_add_co_u32_e64 v37, s[0:1], v33, v37
	v_addc_co_u32_e64 v38, s[0:1], v34, v38, s[0:1]
	v_mad_u64_u32 v[42:43], s[0:1], s3, v27, v[25:26]
	v_add_u32_e32 v39, 0x8f7, v12
	global_load_dword v25, v[37:38], off
	global_load_dword v27, v[40:41], off
	;; [unrolled: 1-line block ×5, first 2 shown]
	v_mad_u64_u32 v[37:38], s[0:1], s2, v39, 0
	v_mov_b32_e32 v52, v42
	v_lshlrev_b64 v[35:36], 2, v[51:52]
	v_mov_b32_e32 v29, v38
	v_add_co_u32_e64 v35, s[0:1], v33, v35
	v_addc_co_u32_e64 v36, s[0:1], v34, v36, s[0:1]
	v_mad_u64_u32 v[38:39], s[0:1], s3, v39, v[29:30]
	v_add_u32_e32 v41, 0xa8c, v12
	v_mad_u64_u32 v[39:40], s[0:1], s2, v41, 0
	global_load_dword v29, v[35:36], off
	v_lshlrev_b64 v[35:36], 2, v[37:38]
	v_mov_b32_e32 v37, v40
	v_mad_u64_u32 v[37:38], s[0:1], s3, v41, v[37:38]
	v_add_co_u32_e64 v41, s[0:1], v33, v35
	v_mov_b32_e32 v40, v37
	v_addc_co_u32_e64 v42, s[0:1], v34, v36, s[0:1]
	v_lshlrev_b64 v[35:36], 2, v[39:40]
	v_add_u32_e32 v40, 0xc21, v12
	v_mad_u64_u32 v[38:39], s[0:1], s2, v40, 0
	v_add_co_u32_e64 v35, s[0:1], v33, v35
	v_mov_b32_e32 v37, v39
	v_addc_co_u32_e64 v36, s[0:1], v34, v36, s[0:1]
	v_mad_u64_u32 v[39:40], s[0:1], s3, v40, v[37:38]
	v_add_u32_e32 v40, 0xdb6, v12
	v_mad_u64_u32 v[44:45], s[0:1], s2, v40, 0
	global_load_dword v37, v[35:36], off
	v_lshlrev_b64 v[35:36], 2, v[38:39]
	v_mov_b32_e32 v38, v45
	v_mad_u64_u32 v[38:39], s[0:1], s3, v40, v[38:39]
	v_add_u32_e32 v51, 0xf4b, v12
	v_mad_u64_u32 v[39:40], s[0:1], s2, v51, 0
	v_add_co_u32_e64 v46, s[0:1], v33, v35
	v_mov_b32_e32 v45, v38
	v_mov_b32_e32 v38, v40
	v_addc_co_u32_e64 v47, s[0:1], v34, v36, s[0:1]
	v_lshlrev_b64 v[35:36], 2, v[44:45]
	v_mad_u64_u32 v[44:45], s[0:1], s3, v51, v[38:39]
	v_add_co_u32_e64 v51, s[0:1], v33, v35
	v_mov_b32_e32 v40, v44
	v_addc_co_u32_e64 v52, s[0:1], v34, v36, s[0:1]
	v_lshlrev_b64 v[35:36], 2, v[39:40]
	v_lshrrev_b32_e32 v54, 16, v26
	v_add_co_u32_e64 v33, s[0:1], v33, v35
	v_addc_co_u32_e64 v34, s[0:1], v34, v36, s[0:1]
	global_load_dword v35, v[33:34], off
	global_load_dword v39, v[51:52], off
	;; [unrolled: 1-line block ×4, first 2 shown]
	v_lshrrev_b32_e32 v47, 16, v31
	v_lshrrev_b32_e32 v46, 16, v30
	;; [unrolled: 1-line block ×5, first 2 shown]
	s_waitcnt vmcnt(11)
	v_lshrrev_b32_e32 v45, 16, v22
	s_waitcnt vmcnt(9)
	v_lshrrev_b32_e32 v44, 16, v27
	;; [unrolled: 2-line block ×6, first 2 shown]
.LBB0_13:
	s_or_b64 exec, exec, s[4:5]
	v_add_f16_e32 v58, v28, v30
	v_fma_f16 v58, v58, -0.5, v2
	v_sub_f16_e32 v59, v47, v33
	s_movk_i32 s1, 0x3b9c
	s_mov_b32 s5, 0xbb9c
	v_fma_f16 v60, v59, s1, v58
	v_sub_f16_e32 v62, v46, v34
	s_movk_i32 s0, 0x38b4
	v_sub_f16_e32 v61, v31, v30
	v_sub_f16_e32 v63, v32, v28
	v_fma_f16 v58, v59, s5, v58
	s_mov_b32 s6, 0xb8b4
	v_fma_f16 v60, v62, s0, v60
	v_add_f16_e32 v61, v63, v61
	s_movk_i32 s4, 0x34f2
	v_fma_f16 v58, v62, s6, v58
	v_fma_f16 v60, v61, s4, v60
	;; [unrolled: 1-line block ×3, first 2 shown]
	v_add_f16_e32 v61, v32, v31
	v_add_f16_e32 v57, v31, v2
	v_fma_f16 v2, v61, -0.5, v2
	v_fma_f16 v61, v62, s5, v2
	v_sub_f16_e32 v63, v30, v31
	v_sub_f16_e32 v64, v28, v32
	v_fma_f16 v2, v62, s1, v2
	v_add_f16_e32 v63, v64, v63
	v_fma_f16 v2, v59, s6, v2
	v_fma_f16 v62, v63, s4, v2
	v_add_f16_e32 v2, v47, v56
	v_add_f16_e32 v2, v46, v2
	;; [unrolled: 1-line block ×5, first 2 shown]
	v_fma_f16 v61, v59, s0, v61
	v_add_f16_e32 v59, v33, v2
	v_add_f16_e32 v2, v34, v46
	;; [unrolled: 1-line block ×3, first 2 shown]
	v_fma_f16 v61, v63, s4, v61
	v_fma_f16 v63, v2, -0.5, v56
	v_sub_f16_e32 v31, v31, v32
	v_sub_f16_e32 v28, v30, v28
	;; [unrolled: 1-line block ×4, first 2 shown]
	v_fma_f16 v2, v31, s5, v63
	v_add_f16_e32 v30, v32, v30
	v_fma_f16 v32, v31, s1, v63
	v_fma_f16 v2, v28, s6, v2
	;; [unrolled: 1-line block ×5, first 2 shown]
	v_add_f16_e32 v32, v33, v47
	v_fma_f16 v32, v32, -0.5, v56
	v_sub_f16_e32 v46, v46, v47
	v_sub_f16_e32 v33, v34, v33
	v_fma_f16 v56, v28, s1, v32
	v_add_f16_e32 v33, v33, v46
	v_fma_f16 v28, v28, s5, v32
	v_pk_add_f16 v34, v7, v6 neg_lo:[0,1] neg_hi:[0,1]
	v_pk_add_f16 v46, v9, v3 neg_lo:[0,1] neg_hi:[0,1]
	v_fma_f16 v86, v31, s6, v56
	v_fma_f16 v88, v31, s0, v28
	v_add_f16_e32 v31, v3, v6
	v_pk_add_f16 v83, v7, v9 neg_lo:[0,1] neg_hi:[0,1]
	v_pk_add_f16 v84, v6, v3 neg_lo:[0,1] neg_hi:[0,1]
	v_pk_add_f16 v34, v46, v34
	s_mov_b32 s7, 0xffff
	v_fma_f16 v31, v31, -0.5, v5
	v_lshrrev_b32_e32 v32, 16, v83
	v_bfi_b32 v34, s7, v34, v84
	s_mov_b32 s10, 0x38b434f2
	v_mul_f16_e32 v87, 0x34f2, v33
	v_fma_f16 v33, v32, s1, v31
	v_pk_mul_f16 v34, v34, s10
	v_fma_f16 v31, v32, s5, v31
	v_add_f16_sdwa v33, v34, v33 dst_sel:DWORD dst_unused:UNUSED_PAD src0_sel:WORD_1 src1_sel:DWORD
	v_sub_f16_sdwa v31, v31, v34 dst_sel:DWORD dst_unused:UNUSED_PAD src0_sel:DWORD src1_sel:WORD_1
	v_lshrrev_b32_e32 v32, 16, v5
	v_add_f16_e32 v28, v7, v5
	v_add_f16_e32 v33, v34, v33
	;; [unrolled: 1-line block ×3, first 2 shown]
	v_add_f16_sdwa v34, v7, v32 dst_sel:DWORD dst_unused:UNUSED_PAD src0_sel:WORD_1 src1_sel:DWORD
	v_add_f16_sdwa v46, v3, v6 dst_sel:DWORD dst_unused:UNUSED_PAD src0_sel:WORD_1 src1_sel:WORD_1
	v_add_f16_e32 v28, v6, v28
	v_add_f16_sdwa v34, v6, v34 dst_sel:DWORD dst_unused:UNUSED_PAD src0_sel:WORD_1 src1_sel:DWORD
	v_fma_f16 v32, v46, -0.5, v32
	v_add_f16_e32 v28, v3, v28
	v_pk_add_f16 v85, v9, v7
	v_pk_add_f16 v78, v6, v7 neg_lo:[0,1] neg_hi:[0,1]
	v_pk_add_f16 v79, v3, v9 neg_lo:[0,1] neg_hi:[0,1]
	v_add_f16_sdwa v34, v3, v34 dst_sel:DWORD dst_unused:UNUSED_PAD src0_sel:WORD_1 src1_sel:DWORD
	v_fma_f16 v46, v83, s5, v32
	v_sub_f16_sdwa v6, v7, v6 dst_sel:DWORD dst_unused:UNUSED_PAD src0_sel:WORD_1 src1_sel:WORD_1
	v_sub_f16_sdwa v3, v9, v3 dst_sel:DWORD dst_unused:UNUSED_PAD src0_sel:WORD_1 src1_sel:WORD_1
	v_fma_f16 v7, v83, s1, v32
	v_fma_f16 v46, v84, s6, v46
	v_add_f16_e32 v3, v3, v6
	v_fma_f16 v7, v84, s0, v7
	v_fma_f16 v6, v3, s4, v46
	;; [unrolled: 1-line block ×3, first 2 shown]
	v_mul_f16_e32 v7, 0x3a79, v33
	v_add_f16_e32 v28, v9, v28
	v_add_f16_sdwa v34, v9, v34 dst_sel:DWORD dst_unused:UNUSED_PAD src0_sel:WORD_1 src1_sel:DWORD
	v_fma_f16 v7, v6, s0, v7
	v_mul_f16_e32 v9, 0x3a79, v31
	v_add_f16_e32 v76, v60, v7
	v_fma_f16 v9, v3, s0, -v9
	v_mul_f16_e32 v3, 0x3a79, v3
	v_sub_f16_e32 v74, v60, v7
	v_add_f16_e32 v7, v8, v23
	v_add_f16_e32 v70, v58, v9
	v_fma_f16 v3, v31, s6, -v3
	v_sub_f16_e32 v64, v58, v9
	v_fma_f16 v7, v7, -0.5, v4
	v_sub_f16_e32 v9, v54, v51
	v_add_f16_e32 v75, v28, v57
	v_mul_f16_e32 v32, 0xb8b4, v33
	v_add_f16_e32 v33, v30, v3
	v_sub_f16_e32 v72, v57, v28
	v_sub_f16_e32 v3, v30, v3
	v_fma_f16 v28, v9, s1, v7
	v_sub_f16_e32 v30, v53, v52
	v_sub_f16_e32 v31, v26, v23
	;; [unrolled: 1-line block ×3, first 2 shown]
	v_fma_f16 v7, v9, s5, v7
	v_fma_f16 v28, v30, s0, v28
	v_add_f16_e32 v31, v56, v31
	v_fma_f16 v7, v30, s6, v7
	s_movk_i32 s11, 0x3a79
	v_fma_f16 v28, v31, s4, v28
	v_fma_f16 v7, v31, s4, v7
	v_add_f16_e32 v31, v50, v26
	v_fma_f16 v32, v6, s11, v32
	v_add_f16_e32 v6, v26, v4
	v_fma_f16 v4, v31, -0.5, v4
	v_fma_f16 v31, v30, s5, v4
	v_sub_f16_e32 v56, v23, v26
	v_sub_f16_e32 v57, v8, v50
	v_fma_f16 v4, v30, s1, v4
	v_add_f16_e32 v56, v57, v56
	v_fma_f16 v4, v9, s6, v4
	v_fma_f16 v89, v56, s4, v4
	v_add_f16_e32 v4, v54, v55
	v_add_f16_e32 v4, v53, v4
	v_add_f16_e32 v4, v52, v4
	v_add_f16_e32 v30, v51, v4
	v_add_f16_e32 v4, v52, v53
	v_add_f16_e32 v6, v23, v6
	v_fma_f16 v31, v9, s0, v31
	v_fma_f16 v9, v4, -0.5, v55
	v_sub_f16_e32 v26, v26, v50
	v_add_f16_e32 v6, v8, v6
	v_fma_f16 v77, v56, s4, v31
	v_fma_f16 v4, v26, s5, v9
	v_sub_f16_e32 v8, v23, v8
	v_sub_f16_e32 v23, v54, v53
	;; [unrolled: 1-line block ×3, first 2 shown]
	v_fma_f16 v9, v26, s1, v9
	v_fma_f16 v4, v8, s6, v4
	v_add_f16_e32 v23, v31, v23
	v_fma_f16 v9, v8, s0, v9
	v_fma_f16 v4, v23, s4, v4
	;; [unrolled: 1-line block ×3, first 2 shown]
	v_add_f16_e32 v9, v51, v54
	v_fma_f16 v9, v9, -0.5, v55
	v_fma_f16 v31, v8, s1, v9
	v_fma_f16 v8, v8, s5, v9
	v_add_f16_e32 v6, v50, v6
	v_sub_f16_e32 v50, v52, v51
	v_fma_f16 v52, v26, s0, v8
	v_add_f16_e32 v8, v11, v48
	v_fma_f16 v80, v26, s6, v31
	v_sub_f16_e32 v31, v53, v54
	v_add_f16_e32 v8, v10, v8
	v_add_f16_e32 v31, v50, v31
	;; [unrolled: 1-line block ×3, first 2 shown]
	v_pk_add_f16 v50, v11, v10 neg_lo:[0,1] neg_hi:[0,1]
	v_pk_add_f16 v53, v24, v49 neg_lo:[0,1] neg_hi:[0,1]
	v_add_f16_e32 v26, v24, v8
	v_add_f16_e32 v8, v49, v10
	v_pk_add_f16 v54, v11, v24 neg_lo:[0,1] neg_hi:[0,1]
	v_pk_add_f16 v81, v10, v49 neg_lo:[0,1] neg_hi:[0,1]
	v_pk_add_f16 v50, v53, v50
	v_fma_f16 v8, v8, -0.5, v48
	v_lshrrev_b32_e32 v9, 16, v54
	v_bfi_b32 v50, s7, v50, v81
	v_mul_f16_e32 v51, 0x34f2, v31
	v_fma_f16 v31, v9, s1, v8
	v_pk_mul_f16 v50, v50, s10
	v_fma_f16 v8, v9, s5, v8
	v_sub_f16_sdwa v8, v8, v50 dst_sel:DWORD dst_unused:UNUSED_PAD src0_sel:DWORD src1_sel:WORD_1
	v_add_f16_sdwa v31, v50, v31 dst_sel:DWORD dst_unused:UNUSED_PAD src0_sel:WORD_1 src1_sel:DWORD
	v_add_f16_e32 v9, v50, v8
	v_lshrrev_b32_e32 v8, 16, v48
	v_add_f16_sdwa v53, v49, v10 dst_sel:DWORD dst_unused:UNUSED_PAD src0_sel:WORD_1 src1_sel:WORD_1
	v_add_f16_e32 v31, v50, v31
	v_add_f16_sdwa v50, v11, v8 dst_sel:DWORD dst_unused:UNUSED_PAD src0_sel:WORD_1 src1_sel:DWORD
	v_fma_f16 v8, v53, -0.5, v8
	v_pk_add_f16 v82, v24, v11
	v_pk_add_f16 v90, v10, v11 neg_lo:[0,1] neg_hi:[0,1]
	v_add_f16_sdwa v50, v10, v50 dst_sel:DWORD dst_unused:UNUSED_PAD src0_sel:WORD_1 src1_sel:DWORD
	v_fma_f16 v53, v54, s5, v8
	v_sub_f16_sdwa v10, v11, v10 dst_sel:DWORD dst_unused:UNUSED_PAD src0_sel:WORD_1 src1_sel:WORD_1
	v_sub_f16_sdwa v11, v24, v49 dst_sel:DWORD dst_unused:UNUSED_PAD src0_sel:WORD_1 src1_sel:WORD_1
	v_fma_f16 v8, v54, s1, v8
	v_add_f16_sdwa v50, v49, v50 dst_sel:DWORD dst_unused:UNUSED_PAD src0_sel:WORD_1 src1_sel:DWORD
	v_fma_f16 v53, v81, s6, v53
	v_add_f16_e32 v10, v11, v10
	v_fma_f16 v8, v81, s0, v8
	v_pk_add_f16 v91, v49, v24 neg_lo:[0,1] neg_hi:[0,1]
	v_add_f16_sdwa v50, v24, v50 dst_sel:DWORD dst_unused:UNUSED_PAD src0_sel:WORD_1 src1_sel:DWORD
	v_fma_f16 v24, v10, s4, v53
	v_fma_f16 v10, v10, s4, v8
	v_mul_f16_e32 v8, 0x3a79, v31
	v_fma_f16 v49, v24, s0, v8
	v_mul_f16_e32 v8, 0x3a79, v9
	v_fma_f16 v53, v10, s0, -v8
	v_add_f16_e32 v65, v7, v53
	v_sub_f16_e32 v56, v7, v53
	v_add_f16_e32 v7, v27, v22
	v_mul_f16_e32 v8, 0xb8b4, v31
	v_mul_f16_e32 v10, 0x3a79, v10
	v_add_f16_e32 v7, v29, v7
	v_fma_f16 v8, v24, s11, v8
	v_fma_f16 v24, v9, s6, -v10
	v_add_f16_e32 v7, v37, v7
	v_add_f16_e32 v68, v26, v6
	;; [unrolled: 1-line block ×3, first 2 shown]
	v_sub_f16_e32 v66, v6, v26
	v_sub_f16_e32 v6, v23, v24
	v_add_f16_e32 v23, v39, v7
	v_add_f16_e32 v7, v37, v29
	v_fma_f16 v7, v7, -0.5, v22
	v_sub_f16_e32 v24, v44, v40
	v_add_f16_e32 v69, v28, v49
	v_add_f16_e32 v11, v50, v30
	v_sub_f16_e32 v67, v28, v49
	v_sub_f16_e32 v10, v30, v50
	v_fma_f16 v26, v24, s1, v7
	v_sub_f16_e32 v28, v42, v41
	v_sub_f16_e32 v30, v27, v29
	;; [unrolled: 1-line block ×3, first 2 shown]
	v_fma_f16 v7, v24, s5, v7
	v_fma_f16 v26, v28, s0, v26
	v_add_f16_e32 v30, v49, v30
	v_fma_f16 v7, v28, s6, v7
	v_fma_f16 v26, v30, s4, v26
	;; [unrolled: 1-line block ×3, first 2 shown]
	v_add_f16_e32 v7, v39, v27
	v_fma_f16 v7, v7, -0.5, v22
	v_fma_f16 v22, v28, s5, v7
	v_sub_f16_e32 v49, v29, v27
	v_sub_f16_e32 v50, v37, v39
	v_fma_f16 v7, v28, s1, v7
	v_fma_f16 v22, v24, s0, v22
	v_add_f16_e32 v49, v50, v49
	v_fma_f16 v7, v24, s6, v7
	v_fma_f16 v53, v49, s4, v22
	;; [unrolled: 1-line block ×3, first 2 shown]
	v_add_f16_e32 v7, v44, v45
	v_add_f16_e32 v7, v42, v7
	;; [unrolled: 1-line block ×5, first 2 shown]
	v_fma_f16 v24, v7, -0.5, v45
	v_sub_f16_e32 v27, v27, v39
	v_fma_f16 v7, v27, s5, v24
	v_sub_f16_e32 v28, v29, v37
	v_sub_f16_e32 v29, v44, v42
	;; [unrolled: 1-line block ×3, first 2 shown]
	v_fma_f16 v24, v27, s1, v24
	v_fma_f16 v7, v28, s6, v7
	v_add_f16_e32 v29, v37, v29
	v_fma_f16 v24, v28, s0, v24
	v_fma_f16 v7, v29, s4, v7
	;; [unrolled: 1-line block ×3, first 2 shown]
	v_add_f16_e32 v29, v40, v44
	v_fma_f16 v29, v29, -0.5, v45
	v_fma_f16 v37, v28, s1, v29
	v_fma_f16 v45, v27, s6, v37
	v_sub_f16_e32 v37, v42, v44
	v_sub_f16_e32 v39, v41, v40
	v_add_f16_e32 v37, v39, v37
	v_fma_f16 v28, v28, s5, v29
	s_waitcnt vmcnt(0)
	v_pk_add_f16 v39, v25, v38 neg_lo:[0,1] neg_hi:[0,1]
	v_pk_add_f16 v40, v35, v36 neg_lo:[0,1] neg_hi:[0,1]
	v_fma_f16 v44, v27, s0, v28
	v_add_f16_e32 v28, v36, v38
	v_pk_add_f16 v63, v25, v35 neg_lo:[0,1] neg_hi:[0,1]
	v_pk_add_f16 v71, v38, v36 neg_lo:[0,1] neg_hi:[0,1]
	v_pk_add_f16 v39, v40, v39
	v_fma_f16 v28, v28, -0.5, v43
	v_lshrrev_b32_e32 v29, 16, v63
	v_bfi_b32 v39, s7, v39, v71
	v_mul_f16_e32 v41, 0x34f2, v37
	v_fma_f16 v37, v29, s1, v28
	v_pk_mul_f16 v39, v39, s10
	v_fma_f16 v28, v29, s5, v28
	v_add_f16_sdwa v37, v39, v37 dst_sel:DWORD dst_unused:UNUSED_PAD src0_sel:WORD_1 src1_sel:DWORD
	v_sub_f16_sdwa v28, v28, v39 dst_sel:DWORD dst_unused:UNUSED_PAD src0_sel:DWORD src1_sel:WORD_1
	v_pk_add_f16 v73, v35, v25
	v_lshrrev_b32_e32 v29, 16, v43
	v_add_f16_sdwa v40, v36, v38 dst_sel:DWORD dst_unused:UNUSED_PAD src0_sel:WORD_1 src1_sel:WORD_1
	v_pack_b32_f16 v44, v44, v45
	v_add_f16_e32 v27, v25, v43
	v_add_f16_e32 v37, v39, v37
	;; [unrolled: 1-line block ×3, first 2 shown]
	v_add_f16_sdwa v39, v25, v29 dst_sel:DWORD dst_unused:UNUSED_PAD src0_sel:WORD_1 src1_sel:DWORD
	v_fma_f16 v29, v40, -0.5, v29
	v_pk_add_f16 v41, v41, v44 op_sel_hi:[0,1]
	v_pk_fma_f16 v43, v73, 0.5, v43 op_sel_hi:[1,0,1] neg_lo:[1,0,0] neg_hi:[1,0,0]
	v_pk_mul_f16 v44, v71, s1 op_sel_hi:[1,0]
	v_pk_add_f16 v92, v38, v25 neg_lo:[0,1] neg_hi:[0,1]
	v_pk_add_f16 v93, v36, v35 neg_lo:[0,1] neg_hi:[0,1]
	v_fma_f16 v40, v63, s5, v29
	v_fma_f16 v29, v63, s1, v29
	v_pk_add_f16 v45, v44, v43 op_sel:[1,0] op_sel_hi:[0,1]
	v_pk_mul_f16 v63, v63, s0 op_sel_hi:[1,0]
	v_pk_add_f16 v43, v43, v44 op_sel:[0,1] op_sel_hi:[1,0] neg_lo:[0,1] neg_hi:[0,1]
	v_fma_f16 v40, v71, s6, v40
	v_fma_f16 v29, v71, s0, v29
	v_pk_add_f16 v45, v45, v63 op_sel:[0,1] op_sel_hi:[1,0] neg_lo:[0,1] neg_hi:[0,1]
	v_pk_add_f16 v71, v93, v92
	v_pk_add_f16 v43, v63, v43 op_sel:[1,0] op_sel_hi:[0,1]
	v_pk_fma_f16 v45, v71, s4, v45 op_sel_hi:[1,0,1]
	v_pk_fma_f16 v43, v71, s4, v43 op_sel_hi:[1,0,1]
	v_mul_f16_e32 v44, 0x34f2, v43
	v_lshrrev_b32_e32 v63, 16, v45
	v_add_f16_e32 v27, v38, v27
	v_add_f16_sdwa v39, v38, v39 dst_sel:DWORD dst_unused:UNUSED_PAD src0_sel:WORD_1 src1_sel:DWORD
	v_fma_f16 v44, v63, s1, v44
	v_mul_f16_e32 v63, 0x34f2, v45
	v_lshrrev_b32_e32 v73, 16, v43
	v_add_f16_e32 v27, v36, v27
	v_add_f16_sdwa v39, v36, v39 dst_sel:DWORD dst_unused:UNUSED_PAD src0_sel:WORD_1 src1_sel:DWORD
	v_fma_f16 v92, v73, s1, -v63
	v_add_f16_e32 v27, v35, v27
	v_add_f16_sdwa v39, v35, v39 dst_sel:DWORD dst_unused:UNUSED_PAD src0_sel:WORD_1 src1_sel:DWORD
	v_sub_f16_sdwa v25, v25, v38 dst_sel:DWORD dst_unused:UNUSED_PAD src0_sel:WORD_1 src1_sel:WORD_1
	v_sub_f16_sdwa v35, v35, v36 dst_sel:DWORD dst_unused:UNUSED_PAD src0_sel:WORD_1 src1_sel:WORD_1
	v_add_f16_e32 v71, v53, v44
	v_add_f16_e32 v73, v49, v92
	v_sub_f16_e32 v63, v53, v44
	v_sub_f16_e32 v53, v49, v92
	v_pack_b32_f16 v49, v52, v80
	v_add_f16_e32 v25, v35, v25
	v_pk_add_f16 v49, v51, v49 op_sel_hi:[0,1]
	v_pk_fma_f16 v48, v82, 0.5, v48 op_sel_hi:[1,0,1] neg_lo:[1,0,0] neg_hi:[1,0,0]
	v_pk_mul_f16 v51, v81, s1 op_sel_hi:[1,0]
	v_fma_f16 v35, v25, s4, v40
	v_fma_f16 v25, v25, s4, v29
	v_mul_f16_e32 v36, 0x3a79, v28
	v_pk_add_f16 v52, v51, v48 op_sel:[1,0] op_sel_hi:[0,1]
	v_pk_mul_f16 v54, v54, s0 op_sel_hi:[1,0]
	v_pk_add_f16 v48, v48, v51 op_sel:[0,1] op_sel_hi:[1,0] neg_lo:[0,1] neg_hi:[0,1]
	v_pk_fma_f16 v5, v85, 0.5, v5 op_sel_hi:[1,0,1] neg_lo:[1,0,0] neg_hi:[1,0,0]
	v_pk_mul_f16 v84, v84, s1 op_sel_hi:[1,0]
	v_fma_f16 v40, v25, s0, -v36
	v_pk_add_f16 v52, v52, v54 op_sel:[0,1] op_sel_hi:[1,0] neg_lo:[0,1] neg_hi:[0,1]
	v_pk_add_f16 v80, v91, v90
	v_pk_add_f16 v48, v54, v48 op_sel:[1,0] op_sel_hi:[0,1]
	v_pk_add_f16 v85, v84, v5 op_sel:[1,0] op_sel_hi:[0,1]
	v_pk_mul_f16 v83, v83, s0 op_sel_hi:[1,0]
	v_pk_add_f16 v5, v5, v84 op_sel:[0,1] op_sel_hi:[1,0] neg_lo:[0,1] neg_hi:[0,1]
	v_add_f16_e32 v55, v30, v40
	v_add_f16_e32 v36, v39, v22
	v_sub_f16_e32 v42, v30, v40
	v_sub_f16_e32 v40, v22, v39
	v_mul_u32_u24_e32 v22, 10, v12
	v_pk_fma_f16 v52, v80, s4, v52 op_sel_hi:[1,0,1]
	v_pk_fma_f16 v48, v80, s4, v48 op_sel_hi:[1,0,1]
	v_pk_add_f16 v85, v85, v83 op_sel:[0,1] op_sel_hi:[1,0] neg_lo:[0,1] neg_hi:[0,1]
	v_pk_add_f16 v78, v79, v78
	v_pk_add_f16 v5, v83, v5 op_sel:[1,0] op_sel_hi:[0,1]
	v_mul_f16_e32 v25, 0x3a79, v25
	v_lshl_add_u32 v50, v22, 1, 0
	v_mul_i32_i24_e32 v22, 10, v18
	v_mul_f16_e32 v51, 0x34f2, v48
	v_lshrrev_b32_e32 v54, 16, v52
	v_pk_fma_f16 v79, v78, s4, v85 op_sel_hi:[1,0,1]
	v_pk_fma_f16 v5, v78, s4, v5 op_sel_hi:[1,0,1]
	v_add_f16_e32 v46, v34, v59
	v_sub_f16_e32 v34, v59, v34
	v_add_f16_e32 v59, v27, v23
	v_mul_f16_e32 v29, 0x3a79, v37
	v_mul_f16_e32 v37, 0xb8b4, v37
	v_fma_f16 v25, v28, s6, -v25
	v_sub_f16_e32 v57, v23, v27
	v_lshl_add_u32 v23, v22, 1, 0
	v_mul_i32_i24_e32 v22, 10, v20
	v_fma_f16 v54, v54, s1, v51
	v_mul_f16_e32 v51, 0x34f2, v52
	v_lshrrev_b32_e32 v80, 16, v48
	v_mul_f16_e32 v78, 0x34f2, v5
	v_lshrrev_b32_e32 v83, 16, v79
	;; [unrolled: 2-line block ×3, first 2 shown]
	v_fma_f16 v29, v35, s0, v29
	v_fma_f16 v35, v35, s11, v37
	v_add_f16_e32 v37, v24, v25
	v_sub_f16_e32 v39, v24, v25
	v_lshl_add_u32 v24, v22, 1, 0
	s_movk_i32 s10, 0xffee
	s_mov_b32 s11, 0x34f23b9c
	v_add_f16_e32 v81, v77, v54
	v_fma_f16 v90, v80, s1, -v51
	v_sub_f16_e32 v80, v77, v54
	v_pack_b32_f16 v54, v88, v86
	v_fma_f16 v78, v83, s1, v78
	v_fma_f16 v86, v85, s1, -v84
	v_add_f16_e32 v60, v26, v29
	v_sub_f16_e32 v58, v26, v29
	v_mad_i32_i24 v22, v12, s10, v50
	v_mad_i32_i24 v30, v18, s10, v23
	;; [unrolled: 1-line block ×3, first 2 shown]
	s_mov_b32 s10, 0x34f2bb9c
	v_pk_add_f16 v54, v87, v54 op_sel_hi:[0,1]
	v_add_f16_e32 v83, v61, v78
	v_add_f16_e32 v87, v62, v86
	v_pk_mul_f16 v5, v5, s11
	v_pk_fma_f16 v84, v79, s10, v5 op_sel:[0,0,1] op_sel_hi:[1,1,0] neg_lo:[0,0,1] neg_hi:[0,0,1]
	v_sub_f16_e32 v5, v61, v78
	v_sub_f16_e32 v61, v62, v86
	v_pack_b32_f16 v62, v83, v87
	v_pack_b32_f16 v75, v75, v76
	ds_write2_b32 v50, v75, v62 offset1:1
	v_pack_b32_f16 v5, v74, v5
	v_pack_b32_f16 v62, v70, v72
	v_add_f16_e32 v82, v89, v90
	ds_write2_b32 v50, v62, v5 offset0:2 offset1:3
	v_pack_b32_f16 v5, v61, v64
	ds_write_b32 v50, v5 offset:16
	v_pack_b32_f16 v5, v81, v82
	v_pack_b32_f16 v61, v68, v69
	v_sub_f16_e32 v77, v89, v90
	ds_write2_b32 v23, v61, v5 offset1:1
	v_pack_b32_f16 v5, v67, v80
	v_pack_b32_f16 v61, v65, v66
	ds_write2_b32 v23, v61, v5 offset0:2 offset1:3
	v_pack_b32_f16 v5, v77, v56
	ds_write_b32 v23, v5 offset:16
	v_pack_b32_f16 v5, v71, v73
	v_pack_b32_f16 v56, v59, v60
	v_add_f16_e32 v47, v2, v32
	v_pk_mul_f16 v48, v48, s11
	ds_write2_b32 v24, v56, v5 offset1:1
	v_pack_b32_f16 v5, v58, v63
	v_pack_b32_f16 v55, v55, v57
	v_bfi_b32 v2, s7, v2, v54
	v_bfi_b32 v32, s7, v32, v84
	v_pk_fma_f16 v51, v52, s10, v48 op_sel:[0,0,1] op_sel_hi:[1,1,0] neg_lo:[0,0,1] neg_hi:[0,0,1]
	v_sub_f16_e32 v78, v54, v84
	ds_write2_b32 v24, v55, v5 offset0:2 offset1:3
	v_pack_b32_f16 v5, v53, v42
	v_pk_add_f16 v2, v2, v32 neg_lo:[0,1] neg_hi:[0,1]
	v_pack_b32_f16 v32, v33, v34
	v_add_f16_e32 v31, v4, v8
	v_lshl_add_u32 v26, v14, 1, 0
	v_lshl_add_u32 v27, v13, 1, 0
	;; [unrolled: 1-line block ×4, first 2 shown]
	v_pk_add_f16 v52, v49, v51
	v_pk_add_f16 v85, v54, v84
	ds_write_b32 v24, v5 offset:16
	s_waitcnt lgkmcnt(0)
	s_barrier
	ds_read_u16 v72, v22 offset:3510
	ds_read_u16 v55, v29
	ds_read_u16 v73, v22 offset:5130
	ds_read_u16 v67, v22 offset:5400
	;; [unrolled: 1-line block ×3, first 2 shown]
	ds_read_u16 v80, v26
	ds_read_u16 v53, v27
	;; [unrolled: 1-line block ×4, first 2 shown]
	ds_read_u16 v77, v22 offset:1890
	ds_read_u16 v75, v22 offset:2160
	;; [unrolled: 1-line block ×8, first 2 shown]
	ds_read_u16 v56, v30
	ds_read_u16 v5, v25
	ds_read_u16 v82, v22 offset:3240
	ds_read_u16 v60, v22 offset:2970
	;; [unrolled: 1-line block ×11, first 2 shown]
	s_waitcnt lgkmcnt(0)
	s_barrier
	ds_write2_b32 v50, v32, v2 offset0:2 offset1:3
	v_pack_b32_f16 v2, v78, v3
	v_alignbit_b32 v71, v85, v85, 16
	v_pack_b32_f16 v46, v46, v47
	ds_write_b32 v50, v2 offset:16
	v_alignbit_b32 v2, v52, v52, 16
	v_pack_b32_f16 v3, v11, v31
	v_pk_mul_f16 v43, v43, s11
	ds_write2_b32 v50, v46, v71 offset1:1
	ds_write2_b32 v23, v3, v2 offset1:1
	v_bfi_b32 v2, s7, v4, v49
	v_bfi_b32 v3, s7, v8, v51
	v_pk_fma_f16 v43, v45, s10, v43 op_sel:[0,0,1] op_sel_hi:[1,1,0] neg_lo:[0,0,1] neg_hi:[0,0,1]
	v_sub_f16_e32 v48, v49, v51
	v_pk_add_f16 v2, v2, v3 neg_lo:[0,1] neg_hi:[0,1]
	v_pack_b32_f16 v3, v9, v10
	v_add_f16_e32 v38, v7, v35
	v_pk_add_f16 v45, v41, v43
	ds_write2_b32 v23, v3, v2 offset0:2 offset1:3
	v_pack_b32_f16 v2, v48, v6
	ds_write_b32 v23, v2 offset:16
	v_alignbit_b32 v2, v45, v45, 16
	v_pack_b32_f16 v3, v36, v38
	ds_write2_b32 v24, v3, v2 offset1:1
	v_bfi_b32 v2, s7, v7, v41
	v_bfi_b32 v3, s7, v35, v43
	v_sub_f16_e32 v44, v41, v43
	v_pk_add_f16 v2, v2, v3 neg_lo:[0,1] neg_hi:[0,1]
	v_pack_b32_f16 v3, v37, v40
	ds_write2_b32 v24, v3, v2 offset0:2 offset1:3
	v_pack_b32_f16 v2, v44, v39
	s_movk_i32 s7, 0xcd
	ds_write_b32 v24, v2 offset:16
	v_mul_lo_u16_sdwa v2, v12, s7 dst_sel:DWORD dst_unused:UNUSED_PAD src0_sel:BYTE_0 src1_sel:DWORD
	v_lshrrev_b16_e32 v2, 11, v2
	v_mul_lo_u16_e32 v3, 10, v2
	v_sub_u16_e32 v3, v12, v3
	v_mov_b32_e32 v4, 4
	v_lshlrev_b32_sdwa v4, v4, v3 dst_sel:DWORD dst_unused:UNUSED_PAD src0_sel:DWORD src1_sel:BYTE_0
	s_waitcnt lgkmcnt(0)
	s_barrier
	global_load_dwordx4 v[37:40], v4, s[8:9]
	s_mov_b32 s7, 0xcccd
	v_mul_u32_u24_sdwa v4, v18, s7 dst_sel:DWORD dst_unused:UNUSED_PAD src0_sel:WORD_0 src1_sel:DWORD
	v_lshrrev_b32_e32 v4, 19, v4
	v_mul_lo_u16_e32 v6, 10, v4
	v_sub_u16_e32 v6, v18, v6
	v_lshlrev_b32_e32 v7, 4, v6
	global_load_dwordx4 v[43:46], v7, s[8:9]
	v_mul_u32_u24_sdwa v7, v20, s7 dst_sel:DWORD dst_unused:UNUSED_PAD src0_sel:WORD_0 src1_sel:DWORD
	v_lshrrev_b32_e32 v7, 19, v7
	v_mul_lo_u16_e32 v8, 10, v7
	v_sub_u16_e32 v8, v20, v8
	v_lshlrev_b32_e32 v9, 4, v8
	global_load_dwordx4 v[47:50], v9, s[8:9]
	v_mul_u32_u24_sdwa v9, v13, s7 dst_sel:DWORD dst_unused:UNUSED_PAD src0_sel:WORD_0 src1_sel:DWORD
	v_lshrrev_b32_e32 v9, 19, v9
	v_mul_lo_u16_e32 v10, 10, v9
	v_sub_u16_e32 v10, v13, v10
	v_lshlrev_b32_e32 v11, 4, v10
	ds_read_u16 v35, v22 offset:3510
	ds_read_u16 v52, v29
	ds_read_u16 v41, v22 offset:5130
	ds_read_u16 v51, v22 offset:5400
	;; [unrolled: 1-line block ×3, first 2 shown]
	ds_read_u16 v78, v26
	ds_read_u16 v71, v27
	;; [unrolled: 1-line block ×3, first 2 shown]
	global_load_dwordx4 v[85:88], v11, s[8:9]
	v_mul_u32_u24_sdwa v11, v15, s7 dst_sel:DWORD dst_unused:UNUSED_PAD src0_sel:WORD_0 src1_sel:DWORD
	v_lshrrev_b32_e32 v11, 19, v11
	v_mul_lo_u16_e32 v31, 10, v11
	v_sub_u16_e32 v31, v15, v31
	v_lshlrev_b32_e32 v32, 4, v31
	ds_read_u16 v84, v22
	ds_read_u16 v89, v22 offset:1890
	ds_read_u16 v90, v22 offset:2160
	;; [unrolled: 1-line block ×8, first 2 shown]
	ds_read_u16 v105, v30
	ds_read_u16 v34, v25
	ds_read_u16 v106, v22 offset:3240
	ds_read_u16 v107, v22 offset:2970
	global_load_dwordx4 v[94:97], v32, s[8:9]
	v_mul_u32_u24_sdwa v32, v16, s7 dst_sel:DWORD dst_unused:UNUSED_PAD src0_sel:WORD_0 src1_sel:DWORD
	v_lshrrev_b32_e32 v32, 19, v32
	v_mul_lo_u16_e32 v33, 10, v32
	v_sub_u16_e32 v33, v16, v33
	v_lshlrev_b32_e32 v98, 4, v33
	ds_read_u16 v108, v22 offset:4860
	ds_read_u16 v109, v22 offset:4590
	;; [unrolled: 1-line block ×9, first 2 shown]
	global_load_dwordx4 v[98:101], v98, s[8:9]
	v_mul_u32_u24_e32 v2, 0x64, v2
	s_waitcnt vmcnt(0) lgkmcnt(0)
	s_barrier
	v_mul_f16_sdwa v117, v78, v37 dst_sel:DWORD dst_unused:UNUSED_PAD src0_sel:DWORD src1_sel:WORD_1
	v_fma_f16 v117, v80, v37, -v117
	v_mul_f16_sdwa v80, v80, v37 dst_sel:DWORD dst_unused:UNUSED_PAD src0_sel:DWORD src1_sel:WORD_1
	v_fma_f16 v118, v78, v37, v80
	v_mul_f16_sdwa v37, v106, v38 dst_sel:DWORD dst_unused:UNUSED_PAD src0_sel:DWORD src1_sel:WORD_1
	v_mul_f16_sdwa v78, v82, v38 dst_sel:DWORD dst_unused:UNUSED_PAD src0_sel:DWORD src1_sel:WORD_1
	v_fma_f16 v37, v82, v38, -v37
	v_fma_f16 v106, v106, v38, v78
	v_mul_f16_sdwa v38, v108, v39 dst_sel:DWORD dst_unused:UNUSED_PAD src0_sel:DWORD src1_sel:WORD_1
	v_mul_f16_sdwa v78, v81, v39 dst_sel:DWORD dst_unused:UNUSED_PAD src0_sel:DWORD src1_sel:WORD_1
	v_fma_f16 v38, v81, v39, -v38
	v_fma_f16 v39, v108, v39, v78
	v_mul_f16_sdwa v78, v115, v40 dst_sel:DWORD dst_unused:UNUSED_PAD src0_sel:DWORD src1_sel:WORD_1
	v_fma_f16 v108, v83, v40, -v78
	v_mul_f16_sdwa v78, v83, v40 dst_sel:DWORD dst_unused:UNUSED_PAD src0_sel:DWORD src1_sel:WORD_1
	v_fma_f16 v115, v115, v40, v78
	v_mul_f16_sdwa v40, v89, v43 dst_sel:DWORD dst_unused:UNUSED_PAD src0_sel:DWORD src1_sel:WORD_1
	v_fma_f16 v119, v77, v43, -v40
	v_mul_f16_sdwa v40, v77, v43 dst_sel:DWORD dst_unused:UNUSED_PAD src0_sel:DWORD src1_sel:WORD_1
	v_fma_f16 v89, v89, v43, v40
	v_mul_f16_sdwa v40, v35, v44 dst_sel:DWORD dst_unused:UNUSED_PAD src0_sel:DWORD src1_sel:WORD_1
	v_fma_f16 v120, v72, v44, -v40
	v_mul_f16_sdwa v40, v72, v44 dst_sel:DWORD dst_unused:UNUSED_PAD src0_sel:DWORD src1_sel:WORD_1
	v_fma_f16 v72, v35, v44, v40
	v_mul_f16_sdwa v35, v41, v45 dst_sel:DWORD dst_unused:UNUSED_PAD src0_sel:DWORD src1_sel:WORD_1
	v_fma_f16 v121, v73, v45, -v35
	v_mul_f16_sdwa v35, v73, v45 dst_sel:DWORD dst_unused:UNUSED_PAD src0_sel:DWORD src1_sel:WORD_1
	v_fma_f16 v122, v41, v45, v35
	v_mul_f16_sdwa v35, v110, v46 dst_sel:DWORD dst_unused:UNUSED_PAD src0_sel:DWORD src1_sel:WORD_1
	v_fma_f16 v45, v79, v46, -v35
	v_mul_f16_sdwa v35, v79, v46 dst_sel:DWORD dst_unused:UNUSED_PAD src0_sel:DWORD src1_sel:WORD_1
	v_fma_f16 v110, v110, v46, v35
	v_mul_f16_sdwa v35, v90, v47 dst_sel:DWORD dst_unused:UNUSED_PAD src0_sel:DWORD src1_sel:WORD_1
	v_fma_f16 v123, v75, v47, -v35
	v_mul_f16_sdwa v35, v75, v47 dst_sel:DWORD dst_unused:UNUSED_PAD src0_sel:DWORD src1_sel:WORD_1
	v_fma_f16 v124, v90, v47, v35
	v_mul_f16_sdwa v35, v93, v48 dst_sel:DWORD dst_unused:UNUSED_PAD src0_sel:DWORD src1_sel:WORD_1
	v_fma_f16 v125, v74, v48, -v35
	v_mul_f16_sdwa v35, v74, v48 dst_sel:DWORD dst_unused:UNUSED_PAD src0_sel:DWORD src1_sel:WORD_1
	v_fma_f16 v126, v93, v48, v35
	v_mul_f16_sdwa v35, v51, v49 dst_sel:DWORD dst_unused:UNUSED_PAD src0_sel:DWORD src1_sel:WORD_1
	v_fma_f16 v127, v67, v49, -v35
	v_mul_f16_sdwa v35, v67, v49 dst_sel:DWORD dst_unused:UNUSED_PAD src0_sel:DWORD src1_sel:WORD_1
	v_fma_f16 v128, v51, v49, v35
	v_mul_f16_sdwa v35, v111, v50 dst_sel:DWORD dst_unused:UNUSED_PAD src0_sel:DWORD src1_sel:WORD_1
	v_fma_f16 v51, v76, v50, -v35
	v_mul_f16_sdwa v35, v76, v50 dst_sel:DWORD dst_unused:UNUSED_PAD src0_sel:DWORD src1_sel:WORD_1
	v_fma_f16 v111, v111, v50, v35
	v_mul_f16_sdwa v35, v91, v85 dst_sel:DWORD dst_unused:UNUSED_PAD src0_sel:DWORD src1_sel:WORD_1
	v_fma_f16 v73, v69, v85, -v35
	v_mul_f16_sdwa v35, v69, v85 dst_sel:DWORD dst_unused:UNUSED_PAD src0_sel:DWORD src1_sel:WORD_1
	v_fma_f16 v75, v91, v85, v35
	v_mul_f16_sdwa v35, v102, v86 dst_sel:DWORD dst_unused:UNUSED_PAD src0_sel:DWORD src1_sel:WORD_1
	v_fma_f16 v74, v68, v86, -v35
	v_mul_f16_sdwa v35, v68, v86 dst_sel:DWORD dst_unused:UNUSED_PAD src0_sel:DWORD src1_sel:WORD_1
	v_fma_f16 v76, v102, v86, v35
	v_mul_f16_sdwa v35, v54, v87 dst_sel:DWORD dst_unused:UNUSED_PAD src0_sel:DWORD src1_sel:WORD_1
	v_fma_f16 v91, v63, v87, -v35
	v_mul_f16_sdwa v35, v63, v87 dst_sel:DWORD dst_unused:UNUSED_PAD src0_sel:DWORD src1_sel:WORD_1
	v_fma_f16 v87, v54, v87, v35
	v_mul_f16_sdwa v35, v112, v88 dst_sel:DWORD dst_unused:UNUSED_PAD src0_sel:DWORD src1_sel:WORD_1
	v_fma_f16 v93, v70, v88, -v35
	v_mul_f16_sdwa v35, v70, v88 dst_sel:DWORD dst_unused:UNUSED_PAD src0_sel:DWORD src1_sel:WORD_1
	v_fma_f16 v90, v112, v88, v35
	v_mul_f16_sdwa v35, v92, v94 dst_sel:DWORD dst_unused:UNUSED_PAD src0_sel:DWORD src1_sel:WORD_1
	v_fma_f16 v81, v65, v94, -v35
	v_mul_f16_sdwa v35, v65, v94 dst_sel:DWORD dst_unused:UNUSED_PAD src0_sel:DWORD src1_sel:WORD_1
	v_fma_f16 v77, v92, v94, v35
	v_mul_f16_sdwa v35, v103, v95 dst_sel:DWORD dst_unused:UNUSED_PAD src0_sel:DWORD src1_sel:WORD_1
	v_fma_f16 v82, v64, v95, -v35
	v_mul_f16_sdwa v35, v64, v95 dst_sel:DWORD dst_unused:UNUSED_PAD src0_sel:DWORD src1_sel:WORD_1
	v_fma_f16 v78, v103, v95, v35
	v_mul_f16_sdwa v35, v104, v96 dst_sel:DWORD dst_unused:UNUSED_PAD src0_sel:DWORD src1_sel:WORD_1
	v_fma_f16 v83, v62, v96, -v35
	v_mul_f16_sdwa v35, v62, v96 dst_sel:DWORD dst_unused:UNUSED_PAD src0_sel:DWORD src1_sel:WORD_1
	v_fma_f16 v79, v104, v96, v35
	v_mul_f16_sdwa v35, v113, v97 dst_sel:DWORD dst_unused:UNUSED_PAD src0_sel:DWORD src1_sel:WORD_1
	v_fma_f16 v85, v66, v97, -v35
	v_mul_f16_sdwa v35, v66, v97 dst_sel:DWORD dst_unused:UNUSED_PAD src0_sel:DWORD src1_sel:WORD_1
	v_fma_f16 v80, v113, v97, v35
	v_mul_f16_sdwa v35, v107, v98 dst_sel:DWORD dst_unused:UNUSED_PAD src0_sel:DWORD src1_sel:WORD_1
	v_fma_f16 v63, v60, v98, -v35
	v_mul_f16_sdwa v35, v60, v98 dst_sel:DWORD dst_unused:UNUSED_PAD src0_sel:DWORD src1_sel:WORD_1
	v_fma_f16 v40, v107, v98, v35
	v_mul_f16_sdwa v35, v109, v99 dst_sel:DWORD dst_unused:UNUSED_PAD src0_sel:DWORD src1_sel:WORD_1
	v_fma_f16 v65, v59, v99, -v35
	v_mul_f16_sdwa v35, v59, v99 dst_sel:DWORD dst_unused:UNUSED_PAD src0_sel:DWORD src1_sel:WORD_1
	v_fma_f16 v62, v109, v99, v35
	v_mul_f16_sdwa v35, v116, v100 dst_sel:DWORD dst_unused:UNUSED_PAD src0_sel:DWORD src1_sel:WORD_1
	v_fma_f16 v66, v61, v100, -v35
	v_mul_f16_sdwa v35, v61, v100 dst_sel:DWORD dst_unused:UNUSED_PAD src0_sel:DWORD src1_sel:WORD_1
	v_fma_f16 v61, v116, v100, v35
	v_mul_f16_sdwa v35, v114, v101 dst_sel:DWORD dst_unused:UNUSED_PAD src0_sel:DWORD src1_sel:WORD_1
	v_fma_f16 v67, v58, v101, -v35
	v_mul_f16_sdwa v35, v58, v101 dst_sel:DWORD dst_unused:UNUSED_PAD src0_sel:DWORD src1_sel:WORD_1
	v_fma_f16 v64, v114, v101, v35
	v_add_f16_e32 v35, v57, v117
	v_add_f16_e32 v35, v35, v37
	;; [unrolled: 1-line block ×5, first 2 shown]
	v_fma_f16 v35, v35, -0.5, v57
	v_sub_f16_e32 v41, v118, v115
	v_fma_f16 v44, v41, s1, v35
	v_sub_f16_e32 v46, v106, v39
	v_sub_f16_e32 v47, v117, v37
	;; [unrolled: 1-line block ×3, first 2 shown]
	v_fma_f16 v35, v41, s5, v35
	v_add_f16_e32 v47, v47, v48
	v_fma_f16 v35, v46, s6, v35
	v_fma_f16 v59, v47, s4, v35
	v_add_f16_e32 v35, v117, v108
	v_fma_f16 v44, v46, s0, v44
	v_fma_f16 v35, v35, -0.5, v57
	v_fma_f16 v58, v47, s4, v44
	v_fma_f16 v44, v46, s5, v35
	v_sub_f16_e32 v47, v37, v117
	v_sub_f16_e32 v48, v38, v108
	v_fma_f16 v35, v46, s1, v35
	v_fma_f16 v44, v41, s0, v44
	v_add_f16_e32 v47, v47, v48
	v_fma_f16 v35, v41, s6, v35
	v_add_f16_e32 v41, v106, v39
	v_fma_f16 v57, v47, s4, v44
	v_fma_f16 v41, v41, -0.5, v84
	v_sub_f16_e32 v44, v117, v108
	v_fma_f16 v60, v47, s4, v35
	v_fma_f16 v46, v44, s5, v41
	v_sub_f16_e32 v47, v37, v38
	v_fma_f16 v37, v47, s6, v46
	v_sub_f16_e32 v38, v118, v106
	v_sub_f16_e32 v46, v115, v39
	v_fma_f16 v41, v44, s1, v41
	v_add_f16_e32 v38, v38, v46
	v_fma_f16 v41, v47, s0, v41
	v_fma_f16 v37, v38, s4, v37
	;; [unrolled: 1-line block ×3, first 2 shown]
	v_add_f16_e32 v41, v118, v115
	v_fma_f16 v41, v41, -0.5, v84
	v_fma_f16 v46, v47, s1, v41
	v_fma_f16 v41, v47, s5, v41
	v_add_f16_e32 v35, v84, v118
	v_fma_f16 v46, v44, s6, v46
	v_fma_f16 v41, v44, s0, v41
	v_add_f16_e32 v44, v56, v119
	v_add_f16_e32 v35, v35, v106
	;; [unrolled: 1-line block ×4, first 2 shown]
	v_sub_f16_e32 v48, v106, v118
	v_sub_f16_e32 v39, v39, v115
	v_add_f16_e32 v44, v44, v121
	v_add_f16_e32 v48, v48, v39
	v_add_f16_e32 v68, v44, v45
	v_add_f16_e32 v44, v120, v121
	v_fma_f16 v39, v48, s4, v46
	v_fma_f16 v44, v44, -0.5, v56
	v_sub_f16_e32 v46, v89, v110
	v_fma_f16 v41, v48, s4, v41
	v_fma_f16 v47, v46, s1, v44
	v_sub_f16_e32 v48, v72, v122
	v_sub_f16_e32 v49, v119, v120
	;; [unrolled: 1-line block ×3, first 2 shown]
	v_fma_f16 v44, v46, s5, v44
	v_add_f16_e32 v49, v49, v50
	v_fma_f16 v44, v48, s6, v44
	v_fma_f16 v70, v49, s4, v44
	v_add_f16_e32 v44, v119, v45
	v_fma_f16 v47, v48, s0, v47
	v_fma_f16 v44, v44, -0.5, v56
	v_fma_f16 v69, v49, s4, v47
	v_fma_f16 v47, v48, s5, v44
	;; [unrolled: 1-line block ×4, first 2 shown]
	v_sub_f16_e32 v49, v120, v119
	v_sub_f16_e32 v50, v121, v45
	v_fma_f16 v44, v46, s6, v44
	v_add_f16_e32 v46, v72, v122
	v_add_f16_e32 v49, v49, v50
	v_fma_f16 v46, v46, -0.5, v105
	v_sub_f16_e32 v48, v119, v45
	v_fma_f16 v56, v49, s4, v47
	v_fma_f16 v84, v49, s4, v44
	;; [unrolled: 1-line block ×3, first 2 shown]
	v_sub_f16_e32 v49, v120, v121
	v_sub_f16_e32 v47, v89, v72
	;; [unrolled: 1-line block ×3, first 2 shown]
	v_fma_f16 v46, v48, s1, v46
	v_fma_f16 v45, v49, s6, v45
	v_add_f16_e32 v47, v47, v50
	v_fma_f16 v46, v49, s0, v46
	v_fma_f16 v45, v47, s4, v45
	;; [unrolled: 1-line block ×3, first 2 shown]
	v_add_f16_e32 v47, v89, v110
	v_add_f16_e32 v44, v105, v89
	v_fma_f16 v50, v47, -0.5, v105
	v_add_f16_e32 v44, v44, v72
	v_fma_f16 v47, v49, s1, v50
	v_sub_f16_e32 v54, v72, v89
	v_sub_f16_e32 v72, v122, v110
	v_fma_f16 v49, v49, s5, v50
	v_fma_f16 v47, v48, s6, v47
	v_add_f16_e32 v54, v54, v72
	v_fma_f16 v48, v48, s0, v49
	v_fma_f16 v49, v54, s4, v48
	v_add_f16_e32 v48, v55, v123
	v_add_f16_e32 v48, v48, v125
	;; [unrolled: 1-line block ×5, first 2 shown]
	v_fma_f16 v48, v48, -0.5, v55
	v_sub_f16_e32 v50, v124, v111
	v_fma_f16 v47, v54, s4, v47
	v_fma_f16 v54, v50, s1, v48
	v_sub_f16_e32 v72, v126, v128
	v_sub_f16_e32 v88, v123, v125
	;; [unrolled: 1-line block ×3, first 2 shown]
	v_fma_f16 v48, v50, s5, v48
	v_fma_f16 v54, v72, s0, v54
	v_add_f16_e32 v89, v88, v89
	v_fma_f16 v48, v72, s6, v48
	v_fma_f16 v88, v89, s4, v54
	;; [unrolled: 1-line block ×3, first 2 shown]
	v_add_f16_e32 v48, v123, v51
	v_fma_f16 v48, v48, -0.5, v55
	v_fma_f16 v54, v72, s5, v48
	v_sub_f16_e32 v55, v125, v123
	v_sub_f16_e32 v92, v127, v51
	v_fma_f16 v48, v72, s1, v48
	v_fma_f16 v54, v50, s0, v54
	v_add_f16_e32 v92, v55, v92
	v_fma_f16 v48, v50, s6, v48
	v_add_f16_e32 v50, v126, v128
	v_fma_f16 v55, v92, s4, v54
	v_fma_f16 v54, v50, -0.5, v52
	v_sub_f16_e32 v72, v123, v51
	v_fma_f16 v50, v72, s5, v54
	v_sub_f16_e32 v94, v125, v127
	v_sub_f16_e32 v51, v124, v126
	;; [unrolled: 1-line block ×3, first 2 shown]
	v_fma_f16 v54, v72, s1, v54
	v_fma_f16 v50, v94, s6, v50
	v_add_f16_e32 v51, v51, v95
	v_fma_f16 v54, v94, s0, v54
	v_fma_f16 v50, v51, s4, v50
	;; [unrolled: 1-line block ×3, first 2 shown]
	v_add_f16_e32 v54, v124, v111
	v_fma_f16 v54, v54, -0.5, v52
	v_fma_f16 v92, v92, s4, v48
	v_add_f16_e32 v48, v52, v124
	v_fma_f16 v52, v94, s1, v54
	v_fma_f16 v54, v94, s5, v54
	;; [unrolled: 1-line block ×4, first 2 shown]
	v_add_f16_e32 v72, v53, v73
	v_add_f16_e32 v72, v72, v74
	;; [unrolled: 1-line block ×3, first 2 shown]
	v_sub_f16_e32 v95, v126, v124
	v_sub_f16_e32 v96, v128, v111
	v_add_f16_e32 v94, v72, v93
	v_add_f16_e32 v72, v74, v91
	;; [unrolled: 1-line block ×3, first 2 shown]
	v_fma_f16 v72, v72, -0.5, v53
	v_sub_f16_e32 v97, v75, v90
	v_fma_f16 v52, v95, s4, v52
	v_fma_f16 v54, v95, s4, v54
	v_fma_f16 v95, v97, s1, v72
	v_sub_f16_e32 v98, v76, v87
	v_sub_f16_e32 v96, v73, v74
	;; [unrolled: 1-line block ×3, first 2 shown]
	v_fma_f16 v72, v97, s5, v72
	v_fma_f16 v95, v98, s0, v95
	v_add_f16_e32 v96, v96, v99
	v_fma_f16 v72, v98, s6, v72
	v_fma_f16 v95, v96, s4, v95
	;; [unrolled: 1-line block ×3, first 2 shown]
	v_add_f16_e32 v72, v73, v93
	v_fma_f16 v53, v72, -0.5, v53
	v_fma_f16 v72, v98, s5, v53
	v_fma_f16 v53, v98, s1, v53
	;; [unrolled: 1-line block ×4, first 2 shown]
	v_add_f16_e32 v97, v76, v87
	v_sub_f16_e32 v100, v91, v93
	v_fma_f16 v97, v97, -0.5, v71
	v_sub_f16_e32 v93, v73, v93
	v_sub_f16_e32 v99, v74, v73
	v_fma_f16 v73, v93, s5, v97
	v_sub_f16_e32 v91, v74, v91
	v_sub_f16_e32 v74, v75, v76
	;; [unrolled: 1-line block ×3, first 2 shown]
	v_fma_f16 v97, v93, s1, v97
	v_add_f16_e32 v99, v99, v100
	v_fma_f16 v73, v91, s6, v73
	v_add_f16_e32 v74, v74, v98
	v_fma_f16 v97, v91, s0, v97
	v_fma_f16 v100, v99, s4, v72
	v_add_f16_e32 v72, v71, v75
	v_fma_f16 v73, v74, s4, v73
	v_fma_f16 v74, v74, s4, v97
	v_add_f16_e32 v97, v75, v90
	v_add_f16_e32 v72, v72, v76
	v_fma_f16 v71, v97, -0.5, v71
	v_add_f16_e32 v72, v72, v87
	v_fma_f16 v97, v91, s1, v71
	v_sub_f16_e32 v75, v76, v75
	v_sub_f16_e32 v76, v87, v90
	v_add_f16_e32 v87, v82, v83
	v_add_f16_e32 v72, v72, v90
	v_fma_f16 v97, v93, s6, v97
	v_add_f16_e32 v76, v75, v76
	v_fma_f16 v71, v91, s5, v71
	v_fma_f16 v87, v87, -0.5, v42
	v_sub_f16_e32 v90, v77, v80
	v_fma_f16 v75, v76, s4, v97
	v_fma_f16 v71, v93, s0, v71
	;; [unrolled: 1-line block ×3, first 2 shown]
	v_sub_f16_e32 v93, v78, v79
	v_sub_f16_e32 v97, v81, v82
	;; [unrolled: 1-line block ×3, first 2 shown]
	v_fma_f16 v87, v90, s5, v87
	v_fma_f16 v91, v93, s0, v91
	v_add_f16_e32 v97, v97, v98
	v_fma_f16 v87, v93, s6, v87
	v_fma_f16 v91, v97, s4, v91
	;; [unrolled: 1-line block ×3, first 2 shown]
	v_add_f16_e32 v87, v81, v85
	v_fma_f16 v76, v76, s4, v71
	v_add_f16_e32 v71, v42, v81
	v_fma_f16 v42, v87, -0.5, v42
	v_add_f16_e32 v71, v71, v82
	v_fma_f16 v87, v93, s5, v42
	v_fma_f16 v42, v93, s1, v42
	v_add_f16_e32 v71, v71, v83
	v_fma_f16 v87, v90, s0, v87
	v_fma_f16 v42, v90, s6, v42
	v_add_f16_e32 v90, v78, v79
	v_fma_f16 v53, v99, s4, v53
	v_add_f16_e32 v71, v71, v85
	v_sub_f16_e32 v98, v82, v81
	v_sub_f16_e32 v99, v83, v85
	v_fma_f16 v90, v90, -0.5, v36
	v_sub_f16_e32 v85, v81, v85
	v_add_f16_e32 v98, v98, v99
	v_fma_f16 v81, v85, s5, v90
	v_sub_f16_e32 v83, v82, v83
	v_sub_f16_e32 v82, v77, v78
	;; [unrolled: 1-line block ×3, first 2 shown]
	v_fma_f16 v90, v85, s1, v90
	v_fma_f16 v99, v98, s4, v87
	v_add_f16_e32 v87, v36, v77
	v_fma_f16 v81, v83, s6, v81
	v_add_f16_e32 v82, v82, v93
	;; [unrolled: 2-line block ×3, first 2 shown]
	v_fma_f16 v81, v82, s4, v81
	v_fma_f16 v82, v82, s4, v90
	v_add_f16_e32 v90, v77, v80
	v_add_f16_e32 v87, v87, v79
	v_fma_f16 v90, v90, -0.5, v36
	v_sub_f16_e32 v77, v78, v77
	v_sub_f16_e32 v78, v79, v80
	v_add_f16_e32 v79, v65, v66
	v_add_f16_e32 v87, v87, v80
	v_fma_f16 v36, v83, s1, v90
	v_add_f16_e32 v77, v77, v78
	v_fma_f16 v78, v83, s5, v90
	v_fma_f16 v79, v79, -0.5, v5
	v_sub_f16_e32 v80, v40, v64
	v_fma_f16 v36, v85, s6, v36
	v_fma_f16 v78, v85, s0, v78
	;; [unrolled: 1-line block ×3, first 2 shown]
	v_sub_f16_e32 v85, v62, v61
	v_sub_f16_e32 v90, v63, v65
	;; [unrolled: 1-line block ×3, first 2 shown]
	v_fma_f16 v79, v80, s5, v79
	v_add_f16_e32 v90, v90, v93
	v_fma_f16 v79, v85, s6, v79
	v_fma_f16 v42, v98, s4, v42
	v_fma_f16 v98, v90, s4, v79
	v_add_f16_e32 v79, v63, v67
	v_fma_f16 v36, v77, s4, v36
	v_fma_f16 v78, v77, s4, v78
	v_add_f16_e32 v77, v5, v63
	v_fma_f16 v83, v85, s0, v83
	v_fma_f16 v5, v79, -0.5, v5
	v_fma_f16 v93, v90, s4, v83
	v_fma_f16 v79, v85, s5, v5
	v_sub_f16_e32 v83, v65, v63
	v_sub_f16_e32 v90, v66, v67
	v_fma_f16 v5, v85, s1, v5
	v_add_f16_e32 v77, v77, v65
	v_fma_f16 v79, v80, s0, v79
	v_add_f16_e32 v83, v83, v90
	;; [unrolled: 2-line block ×3, first 2 shown]
	v_add_f16_e32 v77, v77, v66
	v_fma_f16 v101, v83, s4, v79
	v_fma_f16 v5, v83, s4, v5
	v_fma_f16 v83, v80, -0.5, v34
	v_sub_f16_e32 v63, v63, v67
	v_add_f16_e32 v77, v77, v67
	v_fma_f16 v67, v63, s5, v83
	v_sub_f16_e32 v65, v65, v66
	v_fma_f16 v66, v65, s6, v67
	v_sub_f16_e32 v67, v40, v62
	v_sub_f16_e32 v80, v64, v61
	v_add_f16_e32 v67, v67, v80
	v_fma_f16 v80, v67, s4, v66
	v_fma_f16 v66, v63, s1, v83
	;; [unrolled: 1-line block ×3, first 2 shown]
	v_add_f16_e32 v79, v34, v40
	v_fma_f16 v83, v67, s4, v66
	v_add_f16_e32 v66, v40, v64
	v_add_f16_e32 v79, v79, v62
	v_fma_f16 v34, v66, -0.5, v34
	v_add_f16_e32 v79, v79, v61
	v_fma_f16 v66, v65, s1, v34
	v_sub_f16_e32 v40, v62, v40
	v_sub_f16_e32 v61, v61, v64
	v_fma_f16 v34, v65, s5, v34
	v_fma_f16 v66, v63, s6, v66
	v_add_f16_e32 v40, v40, v61
	v_fma_f16 v34, v63, s0, v34
	v_fma_f16 v85, v40, s4, v66
	;; [unrolled: 1-line block ×3, first 2 shown]
	v_mov_b32_e32 v40, 1
	v_lshlrev_b32_sdwa v3, v40, v3 dst_sel:DWORD dst_unused:UNUSED_PAD src0_sel:DWORD src1_sel:BYTE_0
	v_add3_u32 v102, 0, v2, v3
	v_mul_u32_u24_e32 v2, 0x64, v4
	v_lshlrev_b32_e32 v3, 1, v6
	v_add3_u32 v103, 0, v2, v3
	v_mul_u32_u24_e32 v2, 0x64, v7
	v_lshlrev_b32_e32 v3, 1, v8
	;; [unrolled: 3-line block ×4, first 2 shown]
	v_add_f16_e32 v48, v48, v126
	ds_write_b16 v102, v43
	ds_write_b16 v102, v58 offset:20
	ds_write_b16 v102, v57 offset:40
	;; [unrolled: 1-line block ×4, first 2 shown]
	ds_write_b16 v103, v68
	ds_write_b16 v103, v69 offset:20
	ds_write_b16 v103, v56 offset:40
	ds_write_b16 v103, v84 offset:60
	ds_write_b16 v103, v70 offset:80
	v_add3_u32 v84, 0, v2, v3
	v_mul_u32_u24_e32 v2, 0x64, v32
	v_lshlrev_b32_e32 v3, 1, v33
	v_add_f16_e32 v35, v35, v115
	v_add_f16_e32 v44, v44, v122
	;; [unrolled: 1-line block ×3, first 2 shown]
	ds_write_b16 v8, v86
	ds_write_b16 v8, v88 offset:20
	ds_write_b16 v8, v55 offset:40
	;; [unrolled: 1-line block ×4, first 2 shown]
	v_add3_u32 v86, 0, v2, v3
	v_add_f16_e32 v44, v44, v110
	v_add_f16_e32 v48, v48, v111
	;; [unrolled: 1-line block ×3, first 2 shown]
	ds_write_b16 v9, v94
	ds_write_b16 v9, v95 offset:20
	ds_write_b16 v9, v100 offset:40
	ds_write_b16 v9, v53 offset:60
	ds_write_b16 v9, v96 offset:80
	ds_write_b16 v84, v71
	ds_write_b16 v84, v91 offset:20
	ds_write_b16 v84, v99 offset:40
	ds_write_b16 v84, v42 offset:60
	ds_write_b16 v84, v97 offset:80
	;; [unrolled: 5-line block ×3, first 2 shown]
	s_waitcnt lgkmcnt(0)
	s_barrier
	ds_read_u16 v34, v29
	ds_read_u16 v6, v28
	ds_read_u16 v69, v22 offset:5670
	ds_read_u16 v66, v22 offset:5940
	ds_read_u16 v61, v22 offset:6210
	ds_read_u16 v55, v22 offset:6480
	ds_read_u16 v43, v22
	ds_read_u16 v11, v22 offset:2700
	ds_read_u16 v77, v22 offset:2970
	;; [unrolled: 1-line block ×7, first 2 shown]
	v_lshl_add_u32 v31, v19, 1, 0
	v_lshl_add_u32 v32, v21, 1, 0
	ds_read_u16 v7, v25
	ds_read_u16 v4, v31
	;; [unrolled: 1-line block ×3, first 2 shown]
	ds_read_u16 v64, v22 offset:4590
	ds_read_u16 v59, v22 offset:4860
	;; [unrolled: 1-line block ×6, first 2 shown]
	v_lshl_add_u32 v33, v17, 1, 0
	ds_read_u16 v53, v30
	ds_read_u16 v2, v33
	ds_read_u16 v10, v22 offset:5400
	ds_read_u16 v56, v22 offset:5130
	ds_read_u16 v42, v27
	ds_read_u16 v5, v26
	ds_read_u16 v57, v22 offset:7830
	s_waitcnt lgkmcnt(0)
	s_barrier
	ds_write_b16 v102, v35
	ds_write_b16 v102, v37 offset:20
	ds_write_b16 v102, v39 offset:40
	ds_write_b16 v102, v41 offset:60
	ds_write_b16 v102, v38 offset:80
	ds_write_b16 v103, v44
	ds_write_b16 v103, v45 offset:20
	ds_write_b16 v103, v47 offset:40
	ds_write_b16 v103, v49 offset:60
	ds_write_b16 v103, v46 offset:80
	;; [unrolled: 5-line block ×6, first 2 shown]
	v_mov_b32_e32 v8, 41
	v_mul_lo_u16_sdwa v8, v12, v8 dst_sel:DWORD dst_unused:UNUSED_PAD src0_sel:BYTE_0 src1_sel:DWORD
	v_lshrrev_b16_e32 v39, 11, v8
	v_mul_lo_u16_e32 v8, 50, v39
	v_sub_u16_e32 v94, v12, v8
	v_mov_b32_e32 v8, 3
	v_lshlrev_b32_sdwa v8, v8, v94 dst_sel:DWORD dst_unused:UNUSED_PAD src0_sel:DWORD src1_sel:BYTE_0
	s_waitcnt lgkmcnt(0)
	s_barrier
	global_load_dwordx2 v[48:49], v8, s[8:9] offset:160
	v_lshrrev_b16_e32 v8, 1, v18
	v_mul_u32_u24_e32 v8, 0x147b, v8
	v_lshrrev_b32_e32 v41, 17, v8
	v_mul_lo_u16_e32 v8, 50, v41
	v_sub_u16_e32 v95, v18, v8
	v_lshlrev_b32_e32 v8, 3, v95
	global_load_dwordx2 v[75:76], v8, s[8:9] offset:160
	v_lshrrev_b16_e32 v8, 1, v20
	v_mul_u32_u24_e32 v9, 0x147b, v8
	v_lshrrev_b32_e32 v44, 17, v9
	v_mul_lo_u16_e32 v9, 50, v44
	v_sub_u16_e32 v100, v20, v9
	v_lshlrev_b32_e32 v9, 3, v100
	ds_read_u16 v73, v29
	ds_read_u16 v51, v28
	ds_read_u16 v96, v22 offset:5670
	ds_read_u16 v97, v22 offset:5940
	;; [unrolled: 1-line block ×4, first 2 shown]
	global_load_dwordx2 v[78:79], v9, s[8:9] offset:160
	v_lshrrev_b16_e32 v9, 1, v13
	v_mul_u32_u24_e32 v36, 0x147b, v9
	v_lshrrev_b32_e32 v45, 17, v36
	v_mul_lo_u16_e32 v36, 50, v45
	v_sub_u16_e32 v107, v13, v36
	v_lshlrev_b32_e32 v36, 3, v107
	ds_read_u16 v101, v22
	ds_read_u16 v35, v22 offset:2700
	ds_read_u16 v72, v22 offset:2970
	ds_read_u16 v102, v22 offset:3240
	ds_read_u16 v103, v22 offset:3510
	ds_read_u16 v104, v22 offset:3780
	ds_read_u16 v105, v22 offset:4050
	ds_read_u16 v106, v22 offset:4320
	global_load_dwordx2 v[80:81], v36, s[8:9] offset:160
	v_lshrrev_b16_e32 v37, 1, v15
	ds_read_u16 v74, v25
	ds_read_u16 v52, v31
	;; [unrolled: 1-line block ×3, first 2 shown]
	ds_read_u16 v108, v22 offset:4590
	ds_read_u16 v109, v22 offset:4860
	;; [unrolled: 1-line block ×4, first 2 shown]
	v_lshlrev_b32_sdwa v40, v40, v94 dst_sel:DWORD dst_unused:UNUSED_PAD src0_sel:DWORD src1_sel:BYTE_0
	v_lshlrev_b32_e32 v94, 1, v95
	v_lshlrev_b32_e32 v95, 1, v100
	;; [unrolled: 1-line block ×3, first 2 shown]
	s_movk_i32 s4, 0x3aee
	s_mov_b32 s5, 0xbaee
	v_mul_u32_u24_e32 v39, 0x12c, v39
	s_movk_i32 s6, 0xa8c
	s_waitcnt vmcnt(3) lgkmcnt(13)
	v_mul_f16_sdwa v36, v35, v48 dst_sel:DWORD dst_unused:UNUSED_PAD src0_sel:DWORD src1_sel:WORD_1
	v_fma_f16 v111, v11, v48, -v36
	v_mul_u32_u24_e32 v36, 0x147b, v37
	v_lshrrev_b32_e32 v46, 17, v36
	v_mul_lo_u16_e32 v36, 50, v46
	v_sub_u16_e32 v112, v15, v36
	v_lshlrev_b32_e32 v36, 3, v112
	global_load_dwordx2 v[82:83], v36, s[8:9] offset:160
	v_mul_f16_sdwa v11, v11, v48 dst_sel:DWORD dst_unused:UNUSED_PAD src0_sel:DWORD src1_sel:WORD_1
	v_lshrrev_b16_e32 v36, 1, v16
	v_fma_f16 v113, v35, v48, v11
	v_mul_u32_u24_e32 v11, 0x147b, v36
	v_lshrrev_b32_e32 v47, 17, v11
	v_mul_lo_u16_e32 v11, 50, v47
	v_sub_u16_e32 v114, v16, v11
	v_lshlrev_b32_e32 v11, 3, v114
	global_load_dwordx2 v[84:85], v11, s[8:9] offset:160
	s_waitcnt lgkmcnt(1)
	v_mul_f16_sdwa v11, v38, v49 dst_sel:DWORD dst_unused:UNUSED_PAD src0_sel:DWORD src1_sel:WORD_1
	v_fma_f16 v115, v10, v49, -v11
	v_lshrrev_b16_e32 v11, 1, v14
	v_mul_u32_u24_e32 v35, 0x147b, v11
	v_lshrrev_b32_e32 v48, 17, v35
	v_mul_lo_u16_e32 v35, 50, v48
	v_sub_u16_e32 v116, v14, v35
	v_mul_f16_sdwa v10, v10, v49 dst_sel:DWORD dst_unused:UNUSED_PAD src0_sel:DWORD src1_sel:WORD_1
	v_lshlrev_b32_e32 v35, 3, v116
	v_fma_f16 v117, v38, v49, v10
	v_lshrrev_b16_e32 v10, 1, v19
	global_load_dwordx2 v[86:87], v35, s[8:9] offset:160
	v_mul_u32_u24_e32 v35, 0x147b, v10
	v_lshrrev_b32_e32 v49, 17, v35
	v_mul_lo_u16_e32 v35, 50, v49
	v_sub_u16_e32 v118, v19, v35
	v_lshlrev_b32_e32 v35, 3, v118
	global_load_dwordx2 v[88:89], v35, s[8:9] offset:160
	s_waitcnt vmcnt(6)
	v_mul_f16_sdwa v35, v72, v75 dst_sel:DWORD dst_unused:UNUSED_PAD src0_sel:DWORD src1_sel:WORD_1
	v_lshrrev_b16_e32 v38, 1, v21
	v_fma_f16 v119, v77, v75, -v35
	v_mul_u32_u24_e32 v35, 0x147b, v38
	v_lshrrev_b32_e32 v54, 17, v35
	v_mul_lo_u16_e32 v35, 50, v54
	v_sub_u16_e32 v120, v21, v35
	v_lshlrev_b32_e32 v35, 3, v120
	global_load_dwordx2 v[90:91], v35, s[8:9] offset:160
	v_mul_f16_sdwa v35, v77, v75 dst_sel:DWORD dst_unused:UNUSED_PAD src0_sel:DWORD src1_sel:WORD_1
	v_fma_f16 v77, v72, v75, v35
	v_lshrrev_b16_e32 v35, 1, v17
	v_mul_u32_u24_e32 v72, 0x147b, v35
	v_lshrrev_b32_e32 v72, 17, v72
	v_mul_lo_u16_e32 v75, 50, v72
	v_sub_u16_e32 v75, v17, v75
	v_lshlrev_b32_e32 v92, 3, v75
	global_load_dwordx2 v[92:93], v92, s[8:9] offset:160
	v_mul_f16_sdwa v121, v96, v76 dst_sel:DWORD dst_unused:UNUSED_PAD src0_sel:DWORD src1_sel:WORD_1
	v_fma_f16 v121, v69, v76, -v121
	v_mul_f16_sdwa v69, v69, v76 dst_sel:DWORD dst_unused:UNUSED_PAD src0_sel:DWORD src1_sel:WORD_1
	v_fma_f16 v76, v96, v76, v69
	ds_read_u16 v69, v22 offset:6750
	ds_read_u16 v96, v22 offset:7020
	;; [unrolled: 1-line block ×4, first 2 shown]
	s_waitcnt vmcnt(7)
	v_mul_f16_sdwa v124, v102, v78 dst_sel:DWORD dst_unused:UNUSED_PAD src0_sel:DWORD src1_sel:WORD_1
	v_fma_f16 v124, v71, v78, -v124
	v_mul_f16_sdwa v71, v71, v78 dst_sel:DWORD dst_unused:UNUSED_PAD src0_sel:DWORD src1_sel:WORD_1
	v_fma_f16 v78, v102, v78, v71
	v_mul_f16_sdwa v71, v97, v79 dst_sel:DWORD dst_unused:UNUSED_PAD src0_sel:DWORD src1_sel:WORD_1
	v_fma_f16 v102, v66, v79, -v71
	s_waitcnt vmcnt(6)
	v_mul_f16_sdwa v71, v103, v80 dst_sel:DWORD dst_unused:UNUSED_PAD src0_sel:DWORD src1_sel:WORD_1
	v_fma_f16 v125, v68, v80, -v71
	v_mul_f16_sdwa v68, v68, v80 dst_sel:DWORD dst_unused:UNUSED_PAD src0_sel:DWORD src1_sel:WORD_1
	v_mul_f16_sdwa v71, v98, v81 dst_sel:DWORD dst_unused:UNUSED_PAD src0_sel:DWORD src1_sel:WORD_1
	;; [unrolled: 1-line block ×3, first 2 shown]
	v_fma_f16 v68, v103, v80, v68
	v_fma_f16 v80, v61, v81, -v71
	v_mul_f16_sdwa v61, v61, v81 dst_sel:DWORD dst_unused:UNUSED_PAD src0_sel:DWORD src1_sel:WORD_1
	v_fma_f16 v66, v97, v79, v66
	ds_read_u16 v79, v30
	ds_read_u16 v97, v33
	v_fma_f16 v61, v98, v81, v61
	ds_read_u16 v81, v27
	ds_read_u16 v98, v26
	ds_read_u16 v71, v22 offset:7830
	v_lshlrev_b32_e32 v103, 1, v112
	s_waitcnt vmcnt(0) lgkmcnt(0)
	s_barrier
	v_mul_u32_u24_e32 v36, 0xda75, v36
	v_lshrrev_b32_e32 v36, 22, v36
	v_mul_u32_u24_e32 v11, 0xda75, v11
	v_lshrrev_b32_e32 v11, 22, v11
	;; [unrolled: 2-line block ×3, first 2 shown]
	v_mul_u32_u24_e32 v35, 0xda75, v35
	v_mul_f16_sdwa v107, v104, v82 dst_sel:DWORD dst_unused:UNUSED_PAD src0_sel:DWORD src1_sel:WORD_1
	v_fma_f16 v107, v62, v82, -v107
	v_mul_f16_sdwa v62, v62, v82 dst_sel:DWORD dst_unused:UNUSED_PAD src0_sel:DWORD src1_sel:WORD_1
	v_fma_f16 v62, v104, v82, v62
	v_mul_f16_sdwa v82, v99, v83 dst_sel:DWORD dst_unused:UNUSED_PAD src0_sel:DWORD src1_sel:WORD_1
	v_fma_f16 v82, v55, v83, -v82
	v_mul_f16_sdwa v55, v55, v83 dst_sel:DWORD dst_unused:UNUSED_PAD src0_sel:DWORD src1_sel:WORD_1
	v_fma_f16 v55, v99, v83, v55
	v_lshlrev_b32_e32 v83, 1, v114
	v_mul_f16_sdwa v99, v105, v84 dst_sel:DWORD dst_unused:UNUSED_PAD src0_sel:DWORD src1_sel:WORD_1
	v_fma_f16 v99, v63, v84, -v99
	v_mul_f16_sdwa v63, v63, v84 dst_sel:DWORD dst_unused:UNUSED_PAD src0_sel:DWORD src1_sel:WORD_1
	v_fma_f16 v63, v105, v84, v63
	v_mul_f16_sdwa v84, v69, v85 dst_sel:DWORD dst_unused:UNUSED_PAD src0_sel:DWORD src1_sel:WORD_1
	v_fma_f16 v84, v70, v85, -v84
	v_mul_f16_sdwa v70, v70, v85 dst_sel:DWORD dst_unused:UNUSED_PAD src0_sel:DWORD src1_sel:WORD_1
	v_fma_f16 v85, v69, v85, v70
	v_add_f16_e32 v70, v113, v117
	v_fma_f16 v70, v70, -0.5, v101
	v_lshlrev_b32_e32 v104, 1, v116
	v_lshrrev_b32_e32 v35, 22, v35
	v_mul_f16_sdwa v69, v106, v86 dst_sel:DWORD dst_unused:UNUSED_PAD src0_sel:DWORD src1_sel:WORD_1
	v_fma_f16 v105, v58, v86, -v69
	v_mul_f16_sdwa v58, v58, v86 dst_sel:DWORD dst_unused:UNUSED_PAD src0_sel:DWORD src1_sel:WORD_1
	v_mul_f16_sdwa v69, v96, v87 dst_sel:DWORD dst_unused:UNUSED_PAD src0_sel:DWORD src1_sel:WORD_1
	v_fma_f16 v58, v106, v86, v58
	v_fma_f16 v86, v67, v87, -v69
	v_mul_f16_sdwa v67, v67, v87 dst_sel:DWORD dst_unused:UNUSED_PAD src0_sel:DWORD src1_sel:WORD_1
	v_mul_f16_sdwa v69, v108, v88 dst_sel:DWORD dst_unused:UNUSED_PAD src0_sel:DWORD src1_sel:WORD_1
	v_fma_f16 v67, v96, v87, v67
	;; [unrolled: 4-line block ×3, first 2 shown]
	v_fma_f16 v88, v65, v89, -v69
	v_mul_f16_sdwa v65, v65, v89 dst_sel:DWORD dst_unused:UNUSED_PAD src0_sel:DWORD src1_sel:WORD_1
	v_mul_f16_sdwa v69, v109, v90 dst_sel:DWORD dst_unused:UNUSED_PAD src0_sel:DWORD src1_sel:WORD_1
	v_fma_f16 v106, v59, v90, -v69
	v_mul_f16_sdwa v59, v59, v90 dst_sel:DWORD dst_unused:UNUSED_PAD src0_sel:DWORD src1_sel:WORD_1
	v_mul_f16_sdwa v69, v123, v91 dst_sel:DWORD dst_unused:UNUSED_PAD src0_sel:DWORD src1_sel:WORD_1
	v_fma_f16 v59, v109, v90, v59
	v_fma_f16 v90, v60, v91, -v69
	v_mul_f16_sdwa v60, v60, v91 dst_sel:DWORD dst_unused:UNUSED_PAD src0_sel:DWORD src1_sel:WORD_1
	v_fma_f16 v60, v123, v91, v60
	v_lshlrev_b32_e32 v91, 1, v75
	v_mul_f16_sdwa v69, v110, v92 dst_sel:DWORD dst_unused:UNUSED_PAD src0_sel:DWORD src1_sel:WORD_1
	v_fma_f16 v108, v56, v92, -v69
	v_mul_f16_sdwa v56, v56, v92 dst_sel:DWORD dst_unused:UNUSED_PAD src0_sel:DWORD src1_sel:WORD_1
	v_mul_f16_sdwa v69, v71, v93 dst_sel:DWORD dst_unused:UNUSED_PAD src0_sel:DWORD src1_sel:WORD_1
	v_fma_f16 v56, v110, v92, v56
	v_fma_f16 v92, v57, v93, -v69
	v_mul_f16_sdwa v57, v57, v93 dst_sel:DWORD dst_unused:UNUSED_PAD src0_sel:DWORD src1_sel:WORD_1
	v_add_f16_e32 v69, v43, v111
	v_fma_f16 v57, v71, v93, v57
	v_add_f16_e32 v93, v69, v115
	v_add_f16_e32 v69, v111, v115
	v_sub_f16_e32 v75, v111, v115
	v_fma_f16 v43, v69, -0.5, v43
	v_sub_f16_e32 v69, v113, v117
	v_fma_f16 v71, v75, s5, v70
	v_fma_f16 v75, v75, s4, v70
	v_add_f16_e32 v70, v53, v119
	v_fma_f16 v109, v69, s4, v43
	v_fma_f16 v43, v69, s5, v43
	v_add_f16_e32 v69, v101, v113
	v_add_f16_e32 v101, v70, v121
	;; [unrolled: 1-line block ×3, first 2 shown]
	v_fma_f16 v53, v70, -0.5, v53
	v_sub_f16_e32 v70, v77, v76
	v_fma_f16 v110, v70, s4, v53
	v_fma_f16 v53, v70, s5, v53
	v_add_f16_e32 v70, v79, v77
	v_add_f16_e32 v70, v70, v76
	;; [unrolled: 1-line block ×3, first 2 shown]
	v_fma_f16 v77, v76, -0.5, v79
	v_sub_f16_e32 v79, v119, v121
	v_add_f16_e32 v111, v124, v102
	v_fma_f16 v76, v79, s5, v77
	v_fma_f16 v77, v79, s4, v77
	v_add_f16_e32 v79, v34, v124
	v_fma_f16 v34, v111, -0.5, v34
	v_sub_f16_e32 v111, v78, v66
	v_fma_f16 v112, v111, s4, v34
	v_fma_f16 v34, v111, s5, v34
	v_add_f16_e32 v111, v73, v78
	v_add_f16_e32 v111, v111, v66
	;; [unrolled: 1-line block ×4, first 2 shown]
	v_fma_f16 v66, v66, -0.5, v73
	v_sub_f16_e32 v73, v124, v102
	v_add_f16_e32 v102, v125, v80
	v_fma_f16 v78, v73, s5, v66
	v_fma_f16 v73, v73, s4, v66
	v_add_f16_e32 v66, v42, v125
	v_fma_f16 v42, v102, -0.5, v42
	v_sub_f16_e32 v102, v68, v61
	v_fma_f16 v113, v102, s4, v42
	v_fma_f16 v42, v102, s5, v42
	v_add_f16_e32 v102, v81, v68
	v_add_f16_e32 v102, v102, v61
	v_add_f16_e32 v61, v68, v61
	v_fma_f16 v61, v61, -0.5, v81
	v_sub_f16_e32 v68, v125, v80
	v_add_f16_e32 v66, v66, v80
	v_fma_f16 v80, v68, s5, v61
	v_fma_f16 v81, v68, s4, v61
	v_add_f16_e32 v68, v107, v82
	v_add_f16_e32 v61, v6, v107
	v_fma_f16 v6, v68, -0.5, v6
	v_sub_f16_e32 v68, v62, v55
	v_fma_f16 v114, v68, s4, v6
	v_fma_f16 v6, v68, s5, v6
	v_add_f16_e32 v68, v51, v62
	v_add_f16_e32 v115, v68, v55
	v_add_f16_e32 v55, v62, v55
	v_fma_f16 v51, v55, -0.5, v51
	v_sub_f16_e32 v55, v107, v82
	v_add_f16_e32 v61, v61, v82
	v_fma_f16 v82, v55, s5, v51
	v_fma_f16 v107, v55, s4, v51
	v_add_f16_e32 v55, v99, v84
	;; [unrolled: 14-line block ×3, first 2 shown]
	v_add_f16_e32 v55, v5, v105
	v_fma_f16 v5, v63, -0.5, v5
	v_sub_f16_e32 v63, v58, v67
	v_fma_f16 v68, v63, s4, v5
	v_fma_f16 v5, v63, s5, v5
	v_add_f16_e32 v63, v98, v58
	v_add_f16_e32 v58, v58, v67
	;; [unrolled: 1-line block ×3, first 2 shown]
	v_fma_f16 v58, v58, -0.5, v98
	v_sub_f16_e32 v63, v105, v86
	v_fma_f16 v65, v122, v89, v65
	v_add_f16_e32 v55, v55, v86
	v_fma_f16 v86, v63, s5, v58
	v_fma_f16 v98, v63, s4, v58
	v_add_f16_e32 v63, v96, v88
	v_add_f16_e32 v58, v4, v96
	v_fma_f16 v4, v63, -0.5, v4
	v_sub_f16_e32 v63, v64, v65
	v_fma_f16 v67, v63, s4, v4
	v_fma_f16 v4, v63, s5, v4
	v_add_f16_e32 v63, v52, v64
	v_add_f16_e32 v99, v63, v65
	;; [unrolled: 1-line block ×3, first 2 shown]
	v_fma_f16 v52, v63, -0.5, v52
	v_sub_f16_e32 v63, v96, v88
	v_add_f16_e32 v58, v58, v88
	v_fma_f16 v88, v63, s5, v52
	v_fma_f16 v96, v63, s4, v52
	v_add_f16_e32 v63, v106, v90
	v_add_f16_e32 v52, v3, v106
	v_fma_f16 v3, v63, -0.5, v3
	v_sub_f16_e32 v63, v59, v60
	v_fma_f16 v64, v63, s4, v3
	v_fma_f16 v3, v63, s5, v3
	v_add_f16_e32 v63, v50, v59
	v_add_f16_e32 v59, v59, v60
	v_fma_f16 v50, v59, -0.5, v50
	v_sub_f16_e32 v59, v106, v90
	v_add_f16_e32 v52, v52, v90
	v_fma_f16 v90, v59, s5, v50
	v_fma_f16 v106, v59, s4, v50
	v_add_f16_e32 v59, v108, v92
	v_add_f16_e32 v50, v2, v108
	v_fma_f16 v2, v59, -0.5, v2
	v_sub_f16_e32 v59, v56, v57
	v_add_f16_e32 v105, v63, v60
	v_fma_f16 v60, v59, s4, v2
	v_fma_f16 v2, v59, s5, v2
	v_add_f16_e32 v59, v97, v56
	v_add_f16_e32 v69, v69, v117
	;; [unrolled: 1-line block ×4, first 2 shown]
	v_sub_f16_e32 v57, v108, v92
	v_add3_u32 v108, 0, v39, v40
	v_mul_u32_u24_e32 v39, 0x12c, v41
	ds_write_b16 v108, v93
	ds_write_b16 v108, v109 offset:100
	ds_write_b16 v108, v43 offset:200
	v_add3_u32 v93, 0, v39, v94
	v_mul_u32_u24_e32 v39, 0x12c, v44
	v_add3_u32 v94, 0, v39, v95
	ds_write_b16 v93, v101
	ds_write_b16 v93, v110 offset:100
	ds_write_b16 v93, v53 offset:200
	ds_write_b16 v94, v79
	ds_write_b16 v94, v112 offset:100
	ds_write_b16 v94, v34 offset:200
	v_mul_u32_u24_e32 v34, 0x12c, v45
	v_mul_u32_u24_e32 v39, 0x12c, v46
	v_add3_u32 v34, 0, v34, v100
	v_add3_u32 v79, 0, v39, v103
	ds_write_b16 v34, v66
	ds_write_b16 v34, v113 offset:100
	ds_write_b16 v34, v42 offset:200
	ds_write_b16 v79, v61
	ds_write_b16 v79, v114 offset:100
	ds_write_b16 v79, v6 offset:200
	v_mul_u32_u24_e32 v6, 0x12c, v47
	v_add3_u32 v6, 0, v6, v83
	ds_write_b16 v6, v51
	ds_write_b16 v6, v62 offset:100
	ds_write_b16 v6, v7 offset:200
	v_mul_u32_u24_e32 v7, 0x12c, v48
	v_add3_u32 v7, 0, v7, v104
	v_lshlrev_b32_e32 v87, 1, v118
	ds_write_b16 v7, v55
	ds_write_b16 v7, v68 offset:100
	ds_write_b16 v7, v5 offset:200
	v_mul_u32_u24_e32 v5, 0x12c, v49
	v_add3_u32 v5, 0, v5, v87
	v_lshlrev_b32_e32 v89, 1, v120
	ds_write_b16 v5, v58
	ds_write_b16 v5, v67 offset:100
	ds_write_b16 v5, v4 offset:200
	v_mul_u32_u24_e32 v4, 0x12c, v54
	v_add3_u32 v4, 0, v4, v89
	ds_write_b16 v4, v52
	ds_write_b16 v4, v64 offset:100
	ds_write_b16 v4, v3 offset:200
	v_mul_u32_u24_e32 v3, 0x12c, v72
	v_add_f16_e32 v50, v50, v92
	v_fma_f16 v56, v56, -0.5, v97
	v_add3_u32 v3, 0, v3, v91
	v_fma_f16 v92, v57, s5, v56
	v_fma_f16 v97, v57, s4, v56
	ds_write_b16 v3, v50
	ds_write_b16 v3, v60 offset:100
	ds_write_b16 v3, v2 offset:200
	s_waitcnt lgkmcnt(0)
	s_barrier
	ds_read_u16 v44, v29
	ds_read_u16 v42, v28
	ds_read_u16 v63, v22 offset:5670
	ds_read_u16 v60, v22 offset:5940
	;; [unrolled: 1-line block ×4, first 2 shown]
	ds_read_u16 v46, v22
	ds_read_u16 v68, v22 offset:2700
	ds_read_u16 v66, v22 offset:2970
	;; [unrolled: 1-line block ×7, first 2 shown]
	ds_read_u16 v43, v25
	ds_read_u16 v41, v31
	;; [unrolled: 1-line block ×3, first 2 shown]
	ds_read_u16 v56, v22 offset:4590
	ds_read_u16 v50, v22 offset:4860
	;; [unrolled: 1-line block ×6, first 2 shown]
	ds_read_u16 v48, v30
	ds_read_u16 v39, v33
	ds_read_u16 v67, v22 offset:5400
	ds_read_u16 v53, v22 offset:5130
	ds_read_u16 v47, v27
	ds_read_u16 v45, v26
	ds_read_u16 v54, v22 offset:7830
	s_waitcnt lgkmcnt(0)
	s_barrier
	ds_write_b16 v108, v69
	ds_write_b16 v108, v71 offset:100
	ds_write_b16 v108, v75 offset:200
	ds_write_b16 v93, v70
	ds_write_b16 v93, v76 offset:100
	ds_write_b16 v93, v77 offset:200
	ds_write_b16 v94, v111
	ds_write_b16 v94, v78 offset:100
	ds_write_b16 v94, v73 offset:200
	ds_write_b16 v34, v102
	ds_write_b16 v34, v80 offset:100
	ds_write_b16 v34, v81 offset:200
	ds_write_b16 v79, v115
	ds_write_b16 v79, v82 offset:100
	ds_write_b16 v79, v107 offset:200
	ds_write_b16 v6, v116
	ds_write_b16 v6, v74 offset:100
	ds_write_b16 v6, v84 offset:200
	ds_write_b16 v7, v85
	ds_write_b16 v7, v86 offset:100
	ds_write_b16 v7, v98 offset:200
	ds_write_b16 v5, v99
	ds_write_b16 v5, v88 offset:100
	ds_write_b16 v5, v96 offset:200
	ds_write_b16 v4, v105
	ds_write_b16 v4, v90 offset:100
	ds_write_b16 v4, v106 offset:200
	ds_write_b16 v3, v117
	ds_write_b16 v3, v92 offset:100
	ds_write_b16 v3, v97 offset:200
	v_lshlrev_b32_e32 v4, 1, v12
	v_mov_b32_e32 v5, 0
	v_lshlrev_b64 v[2:3], 2, v[4:5]
	v_mov_b32_e32 v34, s9
	v_add_co_u32_e64 v2, s[0:1], s8, v2
	v_addc_co_u32_e64 v3, s[0:1], v34, v3, s[0:1]
	s_waitcnt lgkmcnt(0)
	s_barrier
	global_load_dwordx2 v[69:70], v[2:3], off offset:560
	v_add_u32_e32 v6, -15, v12
	v_cmp_gt_u32_e64 s[0:1], 15, v12
	v_cndmask_b32_e64 v6, v6, v18, s[0:1]
	v_lshlrev_b32_e32 v6, 1, v6
	v_mov_b32_e32 v7, v5
	v_lshlrev_b64 v[71:72], 2, v[6:7]
	v_mul_u32_u24_e32 v7, 0xda75, v8
	v_add_co_u32_e64 v71, s[0:1], s8, v71
	v_lshrrev_b32_e32 v7, 22, v7
	v_addc_co_u32_e64 v72, s[0:1], v34, v72, s[0:1]
	v_mul_lo_u16_e32 v8, 0x96, v7
	ds_read_u16 v91, v30
	ds_read_u16 v92, v29
	;; [unrolled: 1-line block ×3, first 2 shown]
	ds_read_u16 v77, v22 offset:5670
	ds_read_u16 v94, v22 offset:5940
	;; [unrolled: 1-line block ×4, first 2 shown]
	global_load_dwordx2 v[71:72], v[71:72], off offset:560
	v_sub_u16_e32 v78, v20, v8
	v_mul_u32_u24_e32 v8, 0xda75, v9
	v_lshrrev_b32_e32 v8, 22, v8
	v_mul_lo_u16_e32 v9, 0x96, v8
	v_lshlrev_b32_e32 v73, 3, v78
	global_load_dwordx2 v[73:74], v73, s[8:9] offset:560
	v_sub_u16_e32 v97, v13, v9
	v_lshlrev_b32_e32 v9, 3, v97
	global_load_dwordx2 v[75:76], v9, s[8:9] offset:560
	v_mul_u32_u24_e32 v9, 0xda75, v37
	v_lshrrev_b32_e32 v9, 22, v9
	v_mul_lo_u16_e32 v37, 0x96, v9
	v_sub_u16_e32 v106, v15, v37
	v_lshlrev_b32_e32 v37, 3, v106
	ds_read_u16 v98, v22
	ds_read_u16 v99, v22 offset:2700
	ds_read_u16 v100, v22 offset:2970
	;; [unrolled: 1-line block ×7, first 2 shown]
	global_load_dwordx2 v[79:80], v37, s[8:9] offset:560
	v_mul_lo_u16_e32 v37, 0x96, v36
	v_sub_u16_e32 v109, v16, v37
	v_lshlrev_b32_e32 v37, 3, v109
	ds_read_u16 v107, v22 offset:4590
	ds_read_u16 v108, v22 offset:4860
	global_load_dwordx2 v[81:82], v37, s[8:9] offset:560
	v_mul_lo_u16_e32 v37, 0x96, v11
	v_sub_u16_e32 v114, v14, v37
	v_lshlrev_b32_e32 v37, 3, v114
	ds_read_u16 v110, v22 offset:6750
	ds_read_u16 v111, v22 offset:7020
	ds_read_u16 v112, v22 offset:7290
	ds_read_u16 v113, v22 offset:7560
	global_load_dwordx2 v[83:84], v37, s[8:9] offset:560
	v_mul_lo_u16_e32 v37, 0x96, v10
	v_sub_u16_e32 v119, v19, v37
	v_lshlrev_b32_e32 v37, 3, v119
	ds_read_u16 v115, v25
	ds_read_u16 v116, v31
	;; [unrolled: 1-line block ×4, first 2 shown]
	global_load_dwordx2 v[85:86], v37, s[8:9] offset:560
	v_mul_u32_u24_e32 v37, 0xda75, v38
	v_lshrrev_b32_e32 v37, 22, v37
	v_mul_lo_u16_e32 v38, 0x96, v37
	v_sub_u16_e32 v38, v21, v38
	v_lshlrev_b32_e32 v87, 3, v38
	v_mul_lo_u16_e32 v35, 0x96, v35
	ds_read_u16 v120, v22 offset:5400
	ds_read_u16 v121, v22 offset:5130
	global_load_dwordx2 v[87:88], v87, s[8:9] offset:560
	v_sub_u16_e32 v35, v17, v35
	v_cmp_lt_u32_e64 s[0:1], 14, v12
	v_lshlrev_b32_e32 v78, 1, v78
	v_mul_u32_u24_e32 v7, 0x384, v7
	v_mul_u32_u24_e32 v8, 0x384, v8
	;; [unrolled: 1-line block ×6, first 2 shown]
	v_lshlrev_b32_e32 v38, 1, v38
	v_add3_u32 v7, 0, v7, v78
	s_waitcnt vmcnt(8) lgkmcnt(14)
	v_mul_f16_sdwa v89, v99, v69 dst_sel:DWORD dst_unused:UNUSED_PAD src0_sel:DWORD src1_sel:WORD_1
	v_fma_f16 v122, v68, v69, -v89
	v_lshlrev_b32_e32 v89, 3, v35
	global_load_dwordx2 v[89:90], v89, s[8:9] offset:560
	v_mul_f16_sdwa v68, v68, v69 dst_sel:DWORD dst_unused:UNUSED_PAD src0_sel:DWORD src1_sel:WORD_1
	v_fma_f16 v68, v99, v69, v68
	s_waitcnt lgkmcnt(1)
	v_mul_f16_sdwa v69, v120, v70 dst_sel:DWORD dst_unused:UNUSED_PAD src0_sel:DWORD src1_sel:WORD_1
	v_fma_f16 v69, v67, v70, -v69
	v_mul_f16_sdwa v67, v67, v70 dst_sel:DWORD dst_unused:UNUSED_PAD src0_sel:DWORD src1_sel:WORD_1
	v_fma_f16 v67, v120, v70, v67
	ds_read_u16 v99, v27
	ds_read_u16 v120, v26
	ds_read_u16 v70, v22 offset:7830
	s_waitcnt vmcnt(0) lgkmcnt(0)
	s_barrier
	v_mul_f16_sdwa v123, v100, v71 dst_sel:DWORD dst_unused:UNUSED_PAD src0_sel:DWORD src1_sel:WORD_1
	v_fma_f16 v123, v66, v71, -v123
	v_mul_f16_sdwa v66, v66, v71 dst_sel:DWORD dst_unused:UNUSED_PAD src0_sel:DWORD src1_sel:WORD_1
	v_fma_f16 v66, v100, v71, v66
	v_mul_f16_sdwa v71, v77, v72 dst_sel:DWORD dst_unused:UNUSED_PAD src0_sel:DWORD src1_sel:WORD_1
	v_fma_f16 v71, v63, v72, -v71
	v_mul_f16_sdwa v63, v63, v72 dst_sel:DWORD dst_unused:UNUSED_PAD src0_sel:DWORD src1_sel:WORD_1
	v_fma_f16 v63, v77, v72, v63
	;; [unrolled: 4-line block ×4, first 2 shown]
	v_mul_f16_sdwa v60, v102, v75 dst_sel:DWORD dst_unused:UNUSED_PAD src0_sel:DWORD src1_sel:WORD_1
	v_lshlrev_b32_e32 v77, 1, v97
	v_fma_f16 v97, v62, v75, -v60
	v_mul_f16_sdwa v60, v62, v75 dst_sel:DWORD dst_unused:UNUSED_PAD src0_sel:DWORD src1_sel:WORD_1
	v_fma_f16 v102, v102, v75, v60
	v_mul_f16_sdwa v60, v95, v76 dst_sel:DWORD dst_unused:UNUSED_PAD src0_sel:DWORD src1_sel:WORD_1
	v_fma_f16 v125, v51, v76, -v60
	v_mul_f16_sdwa v51, v51, v76 dst_sel:DWORD dst_unused:UNUSED_PAD src0_sel:DWORD src1_sel:WORD_1
	v_mul_f16_sdwa v60, v103, v79 dst_sel:DWORD dst_unused:UNUSED_PAD src0_sel:DWORD src1_sel:WORD_1
	v_fma_f16 v51, v95, v76, v51
	v_fma_f16 v95, v58, v79, -v60
	v_mul_f16_sdwa v58, v58, v79 dst_sel:DWORD dst_unused:UNUSED_PAD src0_sel:DWORD src1_sel:WORD_1
	v_mul_f16_sdwa v60, v96, v80 dst_sel:DWORD dst_unused:UNUSED_PAD src0_sel:DWORD src1_sel:WORD_1
	v_fma_f16 v58, v103, v79, v58
	;; [unrolled: 4-line block ×4, first 2 shown]
	v_fma_f16 v104, v64, v82, -v60
	v_mul_f16_sdwa v60, v64, v82 dst_sel:DWORD dst_unused:UNUSED_PAD src0_sel:DWORD src1_sel:WORD_1
	v_lshlrev_b32_e32 v76, 1, v106
	v_fma_f16 v106, v110, v82, v60
	v_mul_f16_sdwa v60, v105, v83 dst_sel:DWORD dst_unused:UNUSED_PAD src0_sel:DWORD src1_sel:WORD_1
	v_lshlrev_b32_e32 v75, 1, v109
	v_fma_f16 v109, v55, v83, -v60
	v_mul_f16_sdwa v55, v55, v83 dst_sel:DWORD dst_unused:UNUSED_PAD src0_sel:DWORD src1_sel:WORD_1
	v_fma_f16 v105, v105, v83, v55
	v_mul_f16_sdwa v55, v111, v84 dst_sel:DWORD dst_unused:UNUSED_PAD src0_sel:DWORD src1_sel:WORD_1
	v_fma_f16 v110, v61, v84, -v55
	v_mul_f16_sdwa v55, v61, v84 dst_sel:DWORD dst_unused:UNUSED_PAD src0_sel:DWORD src1_sel:WORD_1
	v_fma_f16 v111, v111, v84, v55
	v_mul_f16_sdwa v55, v107, v85 dst_sel:DWORD dst_unused:UNUSED_PAD src0_sel:DWORD src1_sel:WORD_1
	v_lshlrev_b32_e32 v74, 1, v114
	v_fma_f16 v114, v56, v85, -v55
	v_mul_f16_sdwa v55, v56, v85 dst_sel:DWORD dst_unused:UNUSED_PAD src0_sel:DWORD src1_sel:WORD_1
	v_fma_f16 v107, v107, v85, v55
	v_mul_f16_sdwa v55, v112, v86 dst_sel:DWORD dst_unused:UNUSED_PAD src0_sel:DWORD src1_sel:WORD_1
	v_lshlrev_b32_e32 v73, 1, v119
	v_fma_f16 v119, v57, v86, -v55
	v_mul_f16_sdwa v55, v57, v86 dst_sel:DWORD dst_unused:UNUSED_PAD src0_sel:DWORD src1_sel:WORD_1
	v_fma_f16 v112, v112, v86, v55
	v_mul_f16_sdwa v55, v108, v87 dst_sel:DWORD dst_unused:UNUSED_PAD src0_sel:DWORD src1_sel:WORD_1
	v_fma_f16 v126, v50, v87, -v55
	v_mul_f16_sdwa v50, v50, v87 dst_sel:DWORD dst_unused:UNUSED_PAD src0_sel:DWORD src1_sel:WORD_1
	v_mul_f16_sdwa v55, v113, v88 dst_sel:DWORD dst_unused:UNUSED_PAD src0_sel:DWORD src1_sel:WORD_1
	v_fma_f16 v50, v108, v87, v50
	v_fma_f16 v108, v52, v88, -v55
	v_mul_f16_sdwa v52, v52, v88 dst_sel:DWORD dst_unused:UNUSED_PAD src0_sel:DWORD src1_sel:WORD_1
	v_mul_f16_sdwa v55, v121, v89 dst_sel:DWORD dst_unused:UNUSED_PAD src0_sel:DWORD src1_sel:WORD_1
	v_fma_f16 v52, v113, v88, v52
	;; [unrolled: 4-line block ×3, first 2 shown]
	v_fma_f16 v121, v54, v90, -v55
	v_mul_f16_sdwa v54, v54, v90 dst_sel:DWORD dst_unused:UNUSED_PAD src0_sel:DWORD src1_sel:WORD_1
	v_fma_f16 v127, v70, v90, v54
	v_add_f16_e32 v54, v46, v122
	v_add_f16_e32 v128, v54, v69
	v_add_f16_e32 v54, v122, v69
	v_fma_f16 v46, v54, -0.5, v46
	v_sub_f16_e32 v54, v68, v67
	v_fma_f16 v129, v54, s4, v46
	v_fma_f16 v130, v54, s5, v46
	v_add_f16_e32 v46, v98, v68
	v_add_f16_e32 v56, v46, v67
	v_add_f16_e32 v46, v68, v67
	v_fma_f16 v46, v46, -0.5, v98
	v_sub_f16_e32 v54, v122, v69
	v_fma_f16 v60, v54, s5, v46
	;; [unrolled: 7-line block ×13, first 2 shown]
	v_fma_f16 v94, v44, s5, v42
	v_add_f16_e32 v44, v105, v111
	v_fma_f16 v45, v44, -0.5, v120
	v_sub_f16_e32 v46, v109, v110
	v_fma_f16 v44, v46, s5, v45
	v_fma_f16 v45, v46, s4, v45
	v_add_f16_e32 v46, v41, v114
	v_add_f16_e32 v95, v46, v119
	v_add_f16_e32 v46, v114, v119
	v_fma_f16 v46, v46, -0.5, v41
	v_sub_f16_e32 v47, v107, v112
	v_fma_f16 v41, v47, s4, v46
	v_fma_f16 v96, v47, s5, v46
	v_add_f16_e32 v47, v107, v112
	v_fma_f16 v48, v47, -0.5, v116
	v_sub_f16_e32 v49, v114, v119
	v_fma_f16 v47, v49, s5, v48
	v_fma_f16 v48, v49, s4, v48
	v_add_f16_e32 v49, v40, v126
	v_add_f16_e32 v97, v49, v108
	;; [unrolled: 1-line block ×3, first 2 shown]
	v_fma_f16 v40, v49, -0.5, v40
	v_sub_f16_e32 v49, v50, v52
	v_fma_f16 v98, v49, s4, v40
	v_fma_f16 v99, v49, s5, v40
	v_add_f16_e32 v49, v50, v52
	v_add_f16_e32 v40, v117, v50
	v_fma_f16 v50, v49, -0.5, v117
	v_sub_f16_e32 v51, v126, v108
	v_fma_f16 v49, v51, s5, v50
	v_fma_f16 v50, v51, s4, v50
	v_add_f16_e32 v51, v39, v113
	v_add_f16_e32 v100, v51, v121
	;; [unrolled: 1-line block ×4, first 2 shown]
	v_fma_f16 v51, v51, -0.5, v39
	v_sub_f16_e32 v52, v53, v127
	v_fma_f16 v39, v52, s4, v51
	v_fma_f16 v101, v52, s5, v51
	v_add_f16_e32 v52, v53, v127
	v_add_f16_e32 v51, v118, v53
	v_fma_f16 v53, v52, -0.5, v118
	v_sub_f16_e32 v102, v113, v121
	v_fma_f16 v52, v102, s5, v53
	v_fma_f16 v53, v102, s4, v53
	v_mov_b32_e32 v102, 0x384
	v_cndmask_b32_e64 v102, 0, v102, s[0:1]
	v_add3_u32 v6, 0, v102, v6
	v_add3_u32 v8, 0, v8, v77
	;; [unrolled: 1-line block ×6, first 2 shown]
	v_mul_u32_u24_e32 v36, 0x384, v37
	v_add_f16_e32 v42, v120, v105
	v_add_f16_e32 v46, v116, v107
	ds_write_b16 v22, v128
	ds_write_b16 v22, v129 offset:300
	ds_write_b16 v22, v130 offset:600
	ds_write_b16 v6, v54
	ds_write_b16 v6, v79 offset:300
	ds_write_b16 v6, v80 offset:600
	;; [unrolled: 3-line block ×8, first 2 shown]
	v_add3_u32 v37, 0, v36, v38
	v_lshl_add_u32 v96, v35, 1, 0
	v_add_f16_e32 v42, v42, v111
	v_add_f16_e32 v46, v46, v112
	;; [unrolled: 1-line block ×3, first 2 shown]
	ds_write_b16 v37, v97
	ds_write_b16 v37, v98 offset:300
	ds_write_b16 v37, v99 offset:600
	;; [unrolled: 1-line block ×5, first 2 shown]
	s_waitcnt lgkmcnt(0)
	s_barrier
	ds_read_u16 v43, v29
	ds_read_u16 v39, v28
	ds_read_u16 v88, v22 offset:5670
	ds_read_u16 v83, v22 offset:5940
	;; [unrolled: 1-line block ×4, first 2 shown]
	ds_read_u16 v73, v22
	ds_read_u16 v94, v22 offset:2700
	ds_read_u16 v93, v22 offset:2970
	;; [unrolled: 1-line block ×7, first 2 shown]
	ds_read_u16 v41, v25
	ds_read_u16 v38, v31
	;; [unrolled: 1-line block ×3, first 2 shown]
	ds_read_u16 v85, v22 offset:4590
	ds_read_u16 v80, v22 offset:4860
	;; [unrolled: 1-line block ×6, first 2 shown]
	ds_read_u16 v75, v30
	ds_read_u16 v35, v33
	ds_read_u16 v95, v22 offset:5400
	ds_read_u16 v76, v22 offset:5130
	ds_read_u16 v74, v27
	ds_read_u16 v54, v26
	ds_read_u16 v77, v22 offset:7830
	s_waitcnt lgkmcnt(0)
	s_barrier
	ds_write_b16 v22, v56
	ds_write_b16 v22, v60 offset:300
	ds_write_b16 v22, v61 offset:600
	ds_write_b16 v6, v68
	ds_write_b16 v6, v71 offset:300
	ds_write_b16 v6, v72 offset:600
	;; [unrolled: 3-line block ×9, first 2 shown]
	ds_write_b16 v96, v51 offset:7200
	ds_write_b16 v96, v52 offset:7500
	;; [unrolled: 1-line block ×3, first 2 shown]
	v_lshlrev_b32_e32 v6, 1, v18
	v_mov_b32_e32 v7, v5
	v_lshlrev_b64 v[6:7], 2, v[6:7]
	v_lshlrev_b32_e32 v8, 1, v20
	v_mov_b32_e32 v9, v5
	v_add_co_u32_e64 v6, s[0:1], s8, v6
	v_lshlrev_b64 v[8:9], 2, v[8:9]
	s_waitcnt lgkmcnt(0)
	s_barrier
	ds_read_u16 v45, v30
	ds_read_u16 v44, v29
	;; [unrolled: 1-line block ×3, first 2 shown]
	ds_read_u16 v67, v22 offset:5670
	ds_read_u16 v68, v22 offset:5940
	;; [unrolled: 1-line block ×4, first 2 shown]
	global_load_dwordx2 v[46:47], v[2:3], off offset:1760
	v_addc_co_u32_e64 v7, s[0:1], v34, v7, s[0:1]
	v_add_co_u32_e64 v8, s[0:1], s8, v8
	v_addc_co_u32_e64 v9, s[0:1], v34, v9, s[0:1]
	v_subrev_u32_e32 v10, 45, v12
	v_cmp_gt_u32_e64 s[0:1], 45, v12
	global_load_dwordx2 v[48:49], v[6:7], off offset:1760
	global_load_dwordx2 v[50:51], v[8:9], off offset:1760
	v_cndmask_b32_e64 v10, v10, v13, s[0:1]
	v_lshlrev_b32_e32 v10, 1, v10
	v_mov_b32_e32 v11, v5
	v_lshlrev_b64 v[52:53], 2, v[10:11]
	v_add_u32_e32 v55, 0xb4, v4
	v_add_co_u32_e64 v52, s[0:1], s8, v52
	v_addc_co_u32_e64 v53, s[0:1], v34, v53, s[0:1]
	v_mov_b32_e32 v56, v5
	global_load_dwordx2 v[52:53], v[52:53], off offset:1760
	v_lshlrev_b64 v[55:56], 2, v[55:56]
	v_add_u32_e32 v57, 0x1c2, v4
	v_add_co_u32_e64 v55, s[0:1], s8, v55
	v_mov_b32_e32 v58, v5
	v_addc_co_u32_e64 v56, s[0:1], v34, v56, s[0:1]
	global_load_dwordx2 v[55:56], v[55:56], off offset:1760
	v_lshlrev_b64 v[57:58], 2, v[57:58]
	v_add_u32_e32 v4, 0, v4
	v_add_co_u32_e64 v57, s[0:1], s8, v57
	v_addc_co_u32_e64 v58, s[0:1], v34, v58, s[0:1]
	global_load_dwordx2 v[57:58], v[57:58], off offset:1760
	s_mov_b32 s1, 0x91a3
	s_movk_i32 s0, 0x1c2
	v_mul_u32_u24_sdwa v11, v14, s1 dst_sel:DWORD dst_unused:UNUSED_PAD src0_sel:WORD_0 src1_sel:DWORD
	v_mul_lo_u16_sdwa v34, v11, s0 dst_sel:DWORD dst_unused:UNUSED_PAD src0_sel:BYTE_3 src1_sel:DWORD
	v_sub_u16_e32 v102, v14, v34
	v_lshlrev_b32_e32 v34, 3, v102
	ds_read_u16 v71, v22
	ds_read_u16 v72, v22 offset:2700
	ds_read_u16 v96, v22 offset:2970
	;; [unrolled: 1-line block ×7, first 2 shown]
	global_load_dwordx2 v[59:60], v34, s[8:9] offset:1760
	v_mul_u32_u24_sdwa v34, v19, s1 dst_sel:DWORD dst_unused:UNUSED_PAD src0_sel:WORD_0 src1_sel:DWORD
	v_mul_lo_u16_sdwa v34, v34, s0 dst_sel:DWORD dst_unused:UNUSED_PAD src0_sel:BYTE_3 src1_sel:DWORD
	v_sub_u16_e32 v34, v19, v34
	v_lshlrev_b32_e32 v37, 3, v34
	ds_read_u16 v103, v22 offset:4590
	ds_read_u16 v104, v22 offset:4860
	global_load_dwordx2 v[61:62], v37, s[8:9] offset:1760
	v_mul_u32_u24_sdwa v37, v21, s1 dst_sel:DWORD dst_unused:UNUSED_PAD src0_sel:WORD_0 src1_sel:DWORD
	v_mul_lo_u16_sdwa v37, v37, s0 dst_sel:DWORD dst_unused:UNUSED_PAD src0_sel:BYTE_3 src1_sel:DWORD
	v_sub_u16_e32 v37, v21, v37
	v_lshlrev_b32_e32 v40, 3, v37
	ds_read_u16 v105, v22 offset:6750
	ds_read_u16 v106, v22 offset:7020
	;; [unrolled: 1-line block ×4, first 2 shown]
	global_load_dwordx2 v[63:64], v40, s[8:9] offset:1760
	v_mul_u32_u24_sdwa v40, v17, s1 dst_sel:DWORD dst_unused:UNUSED_PAD src0_sel:WORD_0 src1_sel:DWORD
	v_mul_lo_u16_sdwa v40, v40, s0 dst_sel:DWORD dst_unused:UNUSED_PAD src0_sel:BYTE_3 src1_sel:DWORD
	v_sub_u16_e32 v40, v17, v40
	v_lshlrev_b32_e32 v65, 3, v40
	global_load_dwordx2 v[65:66], v65, s[8:9] offset:1760
	ds_read_u16 v109, v25
	ds_read_u16 v110, v31
	;; [unrolled: 1-line block ×4, first 2 shown]
	ds_read_u16 v113, v22 offset:5400
	ds_read_u16 v114, v22 offset:5130
	ds_read_u16 v115, v27
	ds_read_u16 v116, v26
	ds_read_u16 v117, v22 offset:7830
	v_cmp_lt_u32_e64 s[0:1], 44, v12
	s_waitcnt vmcnt(0) lgkmcnt(0)
	s_barrier
	v_mul_f16_sdwa v118, v72, v46 dst_sel:DWORD dst_unused:UNUSED_PAD src0_sel:DWORD src1_sel:WORD_1
	v_fma_f16 v118, v94, v46, -v118
	v_mul_f16_sdwa v94, v94, v46 dst_sel:DWORD dst_unused:UNUSED_PAD src0_sel:DWORD src1_sel:WORD_1
	v_fma_f16 v46, v72, v46, v94
	v_mul_f16_sdwa v72, v113, v47 dst_sel:DWORD dst_unused:UNUSED_PAD src0_sel:DWORD src1_sel:WORD_1
	v_mul_f16_sdwa v94, v95, v47 dst_sel:DWORD dst_unused:UNUSED_PAD src0_sel:DWORD src1_sel:WORD_1
	v_fma_f16 v72, v95, v47, -v72
	v_fma_f16 v47, v113, v47, v94
	v_mul_f16_sdwa v94, v96, v48 dst_sel:DWORD dst_unused:UNUSED_PAD src0_sel:DWORD src1_sel:WORD_1
	v_fma_f16 v94, v93, v48, -v94
	v_mul_f16_sdwa v93, v93, v48 dst_sel:DWORD dst_unused:UNUSED_PAD src0_sel:DWORD src1_sel:WORD_1
	v_fma_f16 v48, v96, v48, v93
	v_mul_f16_sdwa v93, v67, v49 dst_sel:DWORD dst_unused:UNUSED_PAD src0_sel:DWORD src1_sel:WORD_1
	v_fma_f16 v93, v88, v49, -v93
	v_mul_f16_sdwa v88, v88, v49 dst_sel:DWORD dst_unused:UNUSED_PAD src0_sel:DWORD src1_sel:WORD_1
	v_fma_f16 v49, v67, v49, v88
	v_mul_f16_sdwa v67, v97, v50 dst_sel:DWORD dst_unused:UNUSED_PAD src0_sel:DWORD src1_sel:WORD_1
	v_mul_f16_sdwa v88, v91, v50 dst_sel:DWORD dst_unused:UNUSED_PAD src0_sel:DWORD src1_sel:WORD_1
	v_fma_f16 v67, v91, v50, -v67
	v_fma_f16 v50, v97, v50, v88
	v_mul_f16_sdwa v88, v68, v51 dst_sel:DWORD dst_unused:UNUSED_PAD src0_sel:DWORD src1_sel:WORD_1
	v_fma_f16 v88, v83, v51, -v88
	v_mul_f16_sdwa v83, v83, v51 dst_sel:DWORD dst_unused:UNUSED_PAD src0_sel:DWORD src1_sel:WORD_1
	v_fma_f16 v51, v68, v51, v83
	v_mul_f16_sdwa v68, v98, v52 dst_sel:DWORD dst_unused:UNUSED_PAD src0_sel:DWORD src1_sel:WORD_1
	v_fma_f16 v83, v89, v52, -v68
	v_mul_f16_sdwa v68, v89, v52 dst_sel:DWORD dst_unused:UNUSED_PAD src0_sel:DWORD src1_sel:WORD_1
	;; [unrolled: 4-line block ×12, first 2 shown]
	v_fma_f16 v101, v104, v63, v56
	v_mul_f16_sdwa v56, v108, v64 dst_sel:DWORD dst_unused:UNUSED_PAD src0_sel:DWORD src1_sel:WORD_1
	v_lshlrev_b32_e32 v57, 1, v102
	v_fma_f16 v102, v82, v64, -v56
	v_mul_f16_sdwa v56, v82, v64 dst_sel:DWORD dst_unused:UNUSED_PAD src0_sel:DWORD src1_sel:WORD_1
	v_fma_f16 v103, v108, v64, v56
	v_mul_f16_sdwa v56, v114, v65 dst_sel:DWORD dst_unused:UNUSED_PAD src0_sel:DWORD src1_sel:WORD_1
	v_fma_f16 v104, v76, v65, -v56
	v_mul_f16_sdwa v56, v76, v65 dst_sel:DWORD dst_unused:UNUSED_PAD src0_sel:DWORD src1_sel:WORD_1
	v_fma_f16 v105, v114, v65, v56
	v_mul_f16_sdwa v56, v117, v66 dst_sel:DWORD dst_unused:UNUSED_PAD src0_sel:DWORD src1_sel:WORD_1
	v_fma_f16 v106, v77, v66, -v56
	v_mul_f16_sdwa v56, v77, v66 dst_sel:DWORD dst_unused:UNUSED_PAD src0_sel:DWORD src1_sel:WORD_1
	v_fma_f16 v107, v117, v66, v56
	v_add_f16_e32 v56, v73, v118
	v_add_f16_e32 v108, v56, v72
	v_add_f16_e32 v56, v118, v72
	v_fma_f16 v56, v56, -0.5, v73
	v_sub_f16_e32 v59, v46, v47
	v_fma_f16 v113, v59, s4, v56
	v_fma_f16 v114, v59, s5, v56
	v_add_f16_e32 v56, v71, v46
	v_add_f16_e32 v46, v46, v47
	v_add_f16_e32 v56, v56, v47
	v_fma_f16 v46, v46, -0.5, v71
	v_sub_f16_e32 v47, v118, v72
	v_fma_f16 v60, v47, s5, v46
	;; [unrolled: 7-line block ×13, first 2 shown]
	v_fma_f16 v81, v41, s5, v39
	v_add_f16_e32 v41, v96, v90
	v_fma_f16 v42, v41, -0.5, v116
	v_sub_f16_e32 v43, v92, v97
	v_fma_f16 v41, v43, s5, v42
	v_fma_f16 v42, v43, s4, v42
	v_add_f16_e32 v43, v38, v98
	v_add_f16_e32 v82, v43, v99
	;; [unrolled: 1-line block ×3, first 2 shown]
	v_fma_f16 v38, v43, -0.5, v38
	v_sub_f16_e32 v43, v85, v87
	v_fma_f16 v83, v43, s4, v38
	v_fma_f16 v84, v43, s5, v38
	v_add_f16_e32 v43, v85, v87
	v_fma_f16 v44, v43, -0.5, v110
	v_sub_f16_e32 v45, v98, v99
	v_fma_f16 v43, v45, s5, v44
	v_fma_f16 v44, v45, s4, v44
	v_add_f16_e32 v45, v36, v100
	v_add_f16_e32 v38, v110, v85
	;; [unrolled: 1-line block ×4, first 2 shown]
	v_fma_f16 v45, v45, -0.5, v36
	v_sub_f16_e32 v46, v101, v103
	v_fma_f16 v36, v46, s4, v45
	v_fma_f16 v86, v46, s5, v45
	v_add_f16_e32 v46, v101, v103
	v_fma_f16 v47, v46, -0.5, v111
	v_sub_f16_e32 v48, v100, v102
	v_fma_f16 v46, v48, s5, v47
	v_fma_f16 v47, v48, s4, v47
	v_add_f16_e32 v48, v35, v104
	v_add_f16_e32 v38, v38, v87
	;; [unrolled: 1-line block ×4, first 2 shown]
	v_fma_f16 v48, v48, -0.5, v35
	v_sub_f16_e32 v50, v105, v107
	v_fma_f16 v35, v50, s4, v48
	v_fma_f16 v88, v50, s5, v48
	v_add_f16_e32 v50, v105, v107
	v_fma_f16 v51, v50, -0.5, v112
	v_sub_f16_e32 v89, v104, v106
	v_fma_f16 v50, v89, s5, v51
	v_fma_f16 v51, v89, s4, v51
	v_mov_b32_e32 v89, 0xa8c
	v_cndmask_b32_e64 v89, 0, v89, s[0:1]
	v_add3_u32 v92, 0, v89, v10
	v_mul_u32_u24_sdwa v10, v11, s6 dst_sel:DWORD dst_unused:UNUSED_PAD src0_sel:BYTE_3 src1_sel:DWORD
	v_add_f16_e32 v39, v116, v96
	ds_write_b16 v22, v108
	ds_write_b16 v22, v113 offset:900
	ds_write_b16 v22, v114 offset:1800
	ds_write_b16 v30, v117
	ds_write_b16 v30, v118 offset:900
	ds_write_b16 v30, v119 offset:1800
	;; [unrolled: 3-line block ×3, first 2 shown]
	v_add3_u32 v93, 0, v10, v57
	v_lshl_add_u32 v94, v34, 1, 0
	v_lshl_add_u32 v95, v37, 1, 0
	;; [unrolled: 1-line block ×3, first 2 shown]
	v_add_f16_e32 v39, v39, v90
	ds_write_b16 v92, v71
	ds_write_b16 v92, v72 offset:900
	ds_write_b16 v92, v73 offset:1800
	ds_write_b16 v4, v74 offset:2880
	ds_write_b16 v4, v75 offset:3780
	ds_write_b16 v4, v76 offset:4680
	ds_write_b16 v4, v77 offset:3150
	ds_write_b16 v4, v79 offset:4050
	ds_write_b16 v4, v80 offset:4950
	ds_write_b16 v93, v78
	ds_write_b16 v93, v54 offset:900
	ds_write_b16 v93, v81 offset:1800
	;; [unrolled: 1-line block ×11, first 2 shown]
	s_waitcnt lgkmcnt(0)
	s_barrier
	ds_read_u16 v35, v29
	ds_read_u16 v73, v28
	ds_read_u16 v34, v22 offset:5670
	ds_read_u16 v40, v22 offset:5940
	;; [unrolled: 1-line block ×4, first 2 shown]
	ds_read_u16 v10, v22
	ds_read_u16 v11, v22 offset:2700
	ds_read_u16 v36, v22 offset:2970
	;; [unrolled: 1-line block ×7, first 2 shown]
	ds_read_u16 v77, v25
	ds_read_u16 v83, v31
	;; [unrolled: 1-line block ×3, first 2 shown]
	ds_read_u16 v84, v22 offset:4590
	ds_read_u16 v87, v22 offset:4860
	;; [unrolled: 1-line block ×6, first 2 shown]
	ds_read_u16 v54, v30
	ds_read_u16 v89, v33
	ds_read_u16 v37, v22 offset:5400
	ds_read_u16 v90, v22 offset:5130
	ds_read_u16 v75, v27
	ds_read_u16 v82, v26
	ds_read_u16 v91, v22 offset:7830
	v_add_f16_e32 v45, v111, v101
	v_add_f16_e32 v48, v112, v105
	;; [unrolled: 1-line block ×4, first 2 shown]
	s_waitcnt lgkmcnt(0)
	s_barrier
	ds_write_b16 v22, v56
	ds_write_b16 v22, v60 offset:900
	ds_write_b16 v22, v61 offset:1800
	ds_write_b16 v30, v66
	ds_write_b16 v30, v69 offset:900
	ds_write_b16 v30, v70 offset:1800
	;; [unrolled: 3-line block ×4, first 2 shown]
	ds_write_b16 v4, v49 offset:2880
	ds_write_b16 v4, v52 offset:3780
	;; [unrolled: 1-line block ×6, first 2 shown]
	ds_write_b16 v93, v39
	ds_write_b16 v93, v41 offset:900
	ds_write_b16 v93, v42 offset:1800
	;; [unrolled: 1-line block ×11, first 2 shown]
	s_waitcnt lgkmcnt(0)
	s_barrier
	s_and_saveexec_b64 s[0:1], vcc
	s_cbranch_execz .LBB0_15
; %bb.14:
	v_lshlrev_b32_e32 v4, 1, v17
	v_lshlrev_b64 v[29:30], 2, v[4:5]
	v_mov_b32_e32 v50, s9
	v_add_co_u32_e32 v4, vcc, s8, v29
	v_addc_co_u32_e32 v17, vcc, v50, v30, vcc
	v_add_co_u32_e32 v29, vcc, 0x1000, v4
	v_lshlrev_b32_e32 v4, 1, v21
	v_lshlrev_b64 v[38:39], 2, v[4:5]
	v_addc_co_u32_e32 v30, vcc, 0, v17, vcc
	v_add_co_u32_e32 v4, vcc, s8, v38
	s_movk_i32 s0, 0x1000
	v_addc_co_u32_e32 v17, vcc, v50, v39, vcc
	v_add_co_u32_e32 v38, vcc, s0, v4
	global_load_dwordx2 v[29:30], v[29:30], off offset:1264
	v_addc_co_u32_e32 v39, vcc, 0, v17, vcc
	global_load_dwordx2 v[38:39], v[38:39], off offset:1264
	v_lshlrev_b32_e32 v4, 1, v19
	v_lshlrev_b64 v[41:42], 2, v[4:5]
	v_mul_i32_i24_e32 v43, 0xffffffee, v18
	v_add_co_u32_e32 v4, vcc, s8, v41
	v_addc_co_u32_e32 v17, vcc, v50, v42, vcc
	v_add_co_u32_e32 v41, vcc, s0, v4
	v_addc_co_u32_e32 v42, vcc, 0, v17, vcc
	global_load_dwordx2 v[41:42], v[41:42], off offset:1264
	v_lshlrev_b32_e32 v4, 1, v14
	v_lshlrev_b64 v[17:18], 2, v[4:5]
	v_mul_i32_i24_e32 v51, 0xffffffee, v20
	v_add_co_u32_e32 v4, vcc, s8, v17
	v_addc_co_u32_e32 v14, vcc, v50, v18, vcc
	v_add_co_u32_e32 v17, vcc, s0, v4
	v_addc_co_u32_e32 v18, vcc, 0, v14, vcc
	ds_read_u16 v19, v33
	ds_read_u16 v32, v32
	ds_read_u16 v52, v22 offset:6480
	ds_read_u16 v53, v22 offset:6210
	;; [unrolled: 1-line block ×8, first 2 shown]
	ds_read_u16 v59, v26
	ds_read_u16 v60, v28
	;; [unrolled: 1-line block ×3, first 2 shown]
	global_load_dwordx2 v[44:45], v[17:18], off offset:1264
	ds_read_u16 v4, v22 offset:7830
	v_add_u32_e32 v24, v24, v51
	v_add_u32_e32 v23, v23, v43
	ds_read_u16 v23, v23
	ds_read_u16 v26, v22 offset:7560
	ds_read_u16 v49, v22 offset:7290
	;; [unrolled: 1-line block ×3, first 2 shown]
	ds_read_u16 v65, v25
	ds_read_u16 v24, v24
	s_waitcnt vmcnt(3)
	v_lshrrev_b32_e32 v14, 16, v29
	v_lshrrev_b32_e32 v17, 16, v30
	s_waitcnt lgkmcnt(12)
	v_mul_f16_e32 v18, v29, v20
	s_waitcnt lgkmcnt(6)
	v_mul_f16_e32 v21, v30, v4
	s_waitcnt vmcnt(2)
	v_lshrrev_b32_e32 v27, 16, v38
	v_mul_f16_e32 v20, v14, v20
	v_mul_f16_e32 v4, v17, v4
	v_fma_f16 v14, v90, v14, v18
	v_fma_f16 v17, v91, v17, v21
	v_mul_f16_e32 v18, v27, v33
	v_fma_f16 v21, v90, v29, -v20
	v_fma_f16 v4, v91, v30, -v4
	v_add_f16_e32 v20, v14, v17
	v_add_f16_e32 v29, v14, v19
	v_sub_f16_e32 v30, v14, v17
	v_fma_f16 v46, v87, v38, -v18
	v_sub_f16_e32 v18, v21, v4
	v_fma_f16 v19, v20, -0.5, v19
	v_add_f16_e32 v20, v17, v29
	v_add_f16_e32 v17, v21, v4
	v_lshrrev_b32_e32 v28, 16, v39
	v_add_f16_e32 v21, v89, v21
	v_fma_f16 v14, v18, s4, v19
	v_fma_f16 v18, v18, s5, v19
	v_fma_f16 v19, v17, -0.5, v89
	v_add_f16_e32 v21, v21, v4
	v_fma_f16 v17, v30, s5, v19
	v_fma_f16 v19, v30, s4, v19
	s_waitcnt lgkmcnt(4)
	v_mul_f16_e32 v4, v28, v26
	v_mul_f16_e32 v30, v38, v33
	;; [unrolled: 1-line block ×3, first 2 shown]
	v_fma_f16 v27, v87, v27, v30
	v_fma_f16 v33, v88, v28, v26
	v_fma_f16 v4, v88, v39, -v4
	v_add_f16_e32 v26, v27, v33
	v_sub_f16_e32 v29, v46, v4
	v_fma_f16 v28, v26, -0.5, v32
	v_fma_f16 v26, v29, s4, v28
	v_fma_f16 v28, v29, s5, v28
	v_add_f16_e32 v29, v27, v32
	v_add_f16_e32 v30, v33, v29
	;; [unrolled: 1-line block ×3, first 2 shown]
	ds_read_u16 v38, v31
	v_fma_f16 v29, v29, -0.5, v86
	v_sub_f16_e32 v31, v27, v33
	v_fma_f16 v27, v31, s5, v29
	v_fma_f16 v29, v31, s4, v29
	v_add_f16_e32 v31, v86, v46
	v_add_f16_e32 v31, v31, v4
	v_lshlrev_b32_e32 v4, 1, v16
	v_lshlrev_b64 v[32:33], 2, v[4:5]
	s_waitcnt vmcnt(1)
	v_lshrrev_b32_e32 v39, 16, v41
	v_add_co_u32_e32 v4, vcc, s8, v32
	v_addc_co_u32_e32 v16, vcc, v50, v33, vcc
	v_add_co_u32_e32 v32, vcc, s0, v4
	v_addc_co_u32_e32 v33, vcc, 0, v16, vcc
	v_lshrrev_b32_e32 v4, 16, v42
	v_mul_f16_e32 v16, v39, v48
	v_fma_f16 v62, v84, v41, -v16
	s_waitcnt lgkmcnt(4)
	v_mul_f16_e32 v16, v4, v49
	v_fma_f16 v64, v85, v42, -v16
	v_mul_f16_e32 v16, v41, v48
	v_fma_f16 v39, v84, v39, v16
	v_mul_f16_e32 v16, v42, v49
	v_fma_f16 v41, v85, v4, v16
	v_add_f16_e32 v4, v39, v41
	s_waitcnt lgkmcnt(0)
	v_fma_f16 v25, v4, -0.5, v38
	v_lshlrev_b32_e32 v4, 1, v15
	v_lshlrev_b64 v[15:16], 2, v[4:5]
	global_load_dwordx2 v[46:47], v[32:33], off offset:1264
	v_add_co_u32_e32 v4, vcc, s8, v15
	v_addc_co_u32_e32 v16, vcc, v50, v16, vcc
	v_add_co_u32_e32 v15, vcc, s0, v4
	v_addc_co_u32_e32 v16, vcc, 0, v16, vcc
	global_load_dwordx2 v[48:49], v[15:16], off offset:1264
	v_sub_f16_e32 v32, v62, v64
	v_fma_f16 v15, v32, s4, v25
	v_fma_f16 v25, v32, s5, v25
	v_add_f16_e32 v4, v39, v38
	v_sub_f16_e32 v32, v39, v41
	ds_read_u16 v39, v22 offset:4320
	v_add_f16_e32 v33, v41, v4
	v_add_f16_e32 v4, v62, v64
	v_fma_f16 v4, v4, -0.5, v83
	v_fma_f16 v16, v32, s5, v4
	v_fma_f16 v32, v32, s4, v4
	v_add_f16_e32 v4, v83, v62
	ds_read_u16 v62, v22 offset:4050
	v_add_f16_e32 v38, v4, v64
	s_waitcnt vmcnt(2)
	v_lshrrev_b32_e32 v4, 16, v44
	s_waitcnt lgkmcnt(1)
	v_mul_f16_e32 v42, v4, v39
	v_mul_f16_e32 v39, v44, v39
	v_fma_f16 v39, v80, v4, v39
	v_lshlrev_b32_e32 v4, 1, v13
	v_lshlrev_b64 v[4:5], 2, v[4:5]
	v_lshrrev_b32_e32 v41, 16, v45
	v_add_co_u32_e32 v4, vcc, s8, v4
	v_addc_co_u32_e32 v5, vcc, v50, v5, vcc
	v_add_co_u32_e32 v4, vcc, s0, v4
	ds_read_u16 v64, v22 offset:6750
	v_mul_f16_e32 v66, v41, v63
	v_addc_co_u32_e32 v5, vcc, 0, v5, vcc
	v_fma_f16 v42, v80, v44, -v42
	v_fma_f16 v66, v81, v45, -v66
	v_mul_f16_e32 v63, v45, v63
	global_load_dwordx2 v[44:45], v[4:5], off offset:1264
	v_add_co_u32_e32 v8, vcc, s0, v8
	v_addc_co_u32_e32 v9, vcc, 0, v9, vcc
	global_load_dwordx2 v[8:9], v[8:9], off offset:1264
	v_add_co_u32_e32 v6, vcc, s0, v6
	v_addc_co_u32_e32 v7, vcc, 0, v7, vcc
	;; [unrolled: 3-line block ×3, first 2 shown]
	global_load_dwordx2 v[2:3], v[2:3], off offset:1264
	v_fma_f16 v5, v81, v41, v63
	v_add_f16_e32 v50, v42, v66
	v_add_f16_e32 v4, v39, v5
	;; [unrolled: 1-line block ×3, first 2 shown]
	v_fma_f16 v50, v50, -0.5, v82
	v_sub_f16_e32 v39, v39, v5
	v_sub_f16_e32 v67, v42, v66
	v_fma_f16 v13, v4, -0.5, v59
	v_add_f16_e32 v41, v5, v41
	v_fma_f16 v5, v39, s5, v50
	v_fma_f16 v39, v39, s4, v50
	v_add_f16_e32 v42, v82, v42
	v_fma_f16 v4, v67, s4, v13
	v_fma_f16 v13, v67, s5, v13
	v_add_f16_e32 v42, v42, v66
	ds_read_u16 v63, v22 offset:3780
	v_add_co_u32_e32 v0, vcc, s12, v0
	s_waitcnt vmcnt(5)
	v_lshrrev_b32_e32 v50, 16, v46
	v_lshrrev_b32_e32 v59, 16, v47
	s_waitcnt lgkmcnt(2)
	v_mul_f16_e32 v66, v50, v62
	s_waitcnt lgkmcnt(1)
	v_mul_f16_e32 v67, v59, v64
	v_fma_f16 v66, v78, v46, -v66
	v_fma_f16 v67, v79, v47, -v67
	v_mul_f16_e32 v46, v46, v62
	v_mul_f16_e32 v47, v47, v64
	v_fma_f16 v46, v78, v50, v46
	v_fma_f16 v47, v79, v59, v47
	v_add_f16_e32 v64, v66, v67
	v_add_f16_e32 v50, v46, v47
	;; [unrolled: 1-line block ×3, first 2 shown]
	v_fma_f16 v64, v64, -0.5, v77
	v_sub_f16_e32 v46, v46, v47
	v_sub_f16_e32 v68, v66, v67
	v_fma_f16 v50, v50, -0.5, v65
	v_add_f16_e32 v62, v47, v62
	v_fma_f16 v47, v46, s5, v64
	v_fma_f16 v46, v46, s4, v64
	v_add_f16_e32 v64, v77, v66
	s_waitcnt vmcnt(4)
	v_lshrrev_b32_e32 v65, 16, v48
	v_lshrrev_b32_e32 v66, 16, v49
	v_fma_f16 v59, v68, s4, v50
	v_fma_f16 v50, v68, s5, v50
	v_add_f16_e32 v64, v64, v67
	ds_read_u16 v67, v22 offset:3510
	s_waitcnt lgkmcnt(1)
	v_mul_f16_e32 v68, v65, v63
	v_mul_f16_e32 v69, v66, v52
	v_fma_f16 v68, v76, v48, -v68
	v_fma_f16 v69, v74, v49, -v69
	v_mul_f16_e32 v48, v48, v63
	v_mul_f16_e32 v49, v49, v52
	v_fma_f16 v48, v76, v65, v48
	v_fma_f16 v49, v74, v66, v49
	v_add_f16_e32 v52, v48, v49
	v_add_f16_e32 v65, v68, v69
	v_fma_f16 v52, v52, -0.5, v60
	v_add_f16_e32 v60, v48, v60
	v_fma_f16 v65, v65, -0.5, v73
	v_sub_f16_e32 v48, v48, v49
	v_sub_f16_e32 v70, v68, v69
	v_add_f16_e32 v60, v49, v60
	v_fma_f16 v49, v48, s5, v65
	v_fma_f16 v48, v48, s4, v65
	v_add_f16_e32 v65, v73, v68
	s_waitcnt vmcnt(3)
	v_lshrrev_b32_e32 v66, 16, v44
	v_lshrrev_b32_e32 v68, 16, v45
	v_fma_f16 v63, v70, s4, v52
	v_fma_f16 v52, v70, s5, v52
	v_add_f16_e32 v65, v65, v69
	ds_read_u16 v69, v22 offset:3240
	s_waitcnt lgkmcnt(1)
	v_mul_f16_e32 v70, v66, v67
	v_mul_f16_e32 v73, v68, v53
	v_fma_f16 v70, v72, v44, -v70
	v_fma_f16 v73, v71, v45, -v73
	v_mul_f16_e32 v44, v44, v67
	v_mul_f16_e32 v45, v45, v53
	v_fma_f16 v44, v72, v66, v44
	v_fma_f16 v45, v71, v68, v45
	ds_read_u16 v71, v22 offset:2970
	v_add_f16_e32 v53, v44, v45
	v_add_f16_e32 v67, v70, v73
	v_fma_f16 v53, v53, -0.5, v61
	v_add_f16_e32 v61, v44, v61
	v_fma_f16 v67, v67, -0.5, v75
	v_sub_f16_e32 v44, v44, v45
	v_sub_f16_e32 v74, v70, v73
	v_add_f16_e32 v61, v45, v61
	v_fma_f16 v45, v44, s5, v67
	v_fma_f16 v44, v44, s4, v67
	v_add_f16_e32 v67, v75, v70
	s_waitcnt vmcnt(2)
	v_lshrrev_b32_e32 v68, 16, v8
	v_lshrrev_b32_e32 v70, 16, v9
	v_add_f16_e32 v67, v67, v73
	s_waitcnt lgkmcnt(1)
	v_mul_f16_e32 v72, v68, v69
	v_mul_f16_e32 v73, v70, v55
	v_fma_f16 v72, v57, v8, -v72
	v_fma_f16 v73, v40, v9, -v73
	v_mul_f16_e32 v8, v8, v69
	v_mul_f16_e32 v9, v9, v55
	v_fma_f16 v8, v57, v68, v8
	ds_read_u16 v68, v22 offset:2700
	v_fma_f16 v9, v40, v70, v9
	v_add_f16_e32 v40, v8, v9
	v_add_f16_e32 v55, v72, v73
	v_fma_f16 v40, v40, -0.5, v24
	v_add_f16_e32 v24, v8, v24
	v_fma_f16 v55, v55, -0.5, v35
	v_sub_f16_e32 v8, v8, v9
	v_fma_f16 v57, v8, s5, v55
	v_fma_f16 v55, v8, s4, v55
	v_add_f16_e32 v8, v35, v72
	v_add_f16_e32 v24, v9, v24
	v_add_f16_e32 v35, v8, v73
	s_waitcnt vmcnt(1)
	v_lshrrev_b32_e32 v8, 16, v6
	v_lshrrev_b32_e32 v9, 16, v7
	s_waitcnt lgkmcnt(1)
	v_mul_f16_e32 v69, v8, v71
	v_mul_f16_e32 v70, v9, v56
	v_fma_f16 v69, v36, v6, -v69
	v_fma_f16 v70, v34, v7, -v70
	v_mul_f16_e32 v6, v6, v71
	v_mul_f16_e32 v7, v7, v56
	v_fma_f16 v6, v36, v8, v6
	v_fma_f16 v7, v34, v9, v7
	v_add_f16_e32 v8, v6, v7
	v_fma_f16 v66, v74, s4, v53
	v_fma_f16 v53, v74, s5, v53
	v_sub_f16_e32 v74, v72, v73
	v_sub_f16_e32 v72, v69, v70
	v_fma_f16 v8, v8, -0.5, v23
	v_fma_f16 v34, v72, s4, v8
	v_fma_f16 v36, v72, s5, v8
	v_add_f16_e32 v8, v6, v23
	v_add_f16_e32 v23, v7, v8
	;; [unrolled: 1-line block ×3, first 2 shown]
	v_fma_f16 v8, v8, -0.5, v54
	v_sub_f16_e32 v6, v6, v7
	v_fma_f16 v43, v6, s5, v8
	v_fma_f16 v56, v6, s4, v8
	ds_read_u16 v8, v22
	v_add_f16_e32 v6, v54, v69
	v_add_f16_e32 v54, v6, v70
	s_waitcnt vmcnt(0)
	v_lshrrev_b32_e32 v6, 16, v2
	s_waitcnt lgkmcnt(1)
	v_mul_f16_e32 v9, v6, v68
	v_fma_f16 v9, v11, v2, -v9
	v_mul_f16_e32 v2, v2, v68
	v_lshrrev_b32_e32 v7, 16, v3
	v_fma_f16 v6, v11, v6, v2
	v_mul_f16_e32 v2, v3, v58
	v_mul_f16_e32 v22, v7, v58
	v_fma_f16 v7, v37, v7, v2
	v_fma_f16 v22, v37, v3, -v22
	v_add_f16_e32 v2, v6, v7
	v_sub_f16_e32 v69, v9, v22
	s_waitcnt lgkmcnt(0)
	v_fma_f16 v2, v2, -0.5, v8
	v_fma_f16 v11, v69, s4, v2
	v_fma_f16 v37, v69, s5, v2
	v_add_f16_e32 v2, v6, v8
	v_add_f16_e32 v8, v7, v2
	v_mad_u64_u32 v[2:3], s[0:1], s2, v12, 0
	v_sub_f16_e32 v68, v6, v7
	v_add_f16_e32 v58, v9, v22
	v_mad_u64_u32 v[6:7], s[0:1], s3, v12, v[3:4]
	v_add_f16_e32 v3, v10, v9
	v_fma_f16 v58, v58, -0.5, v10
	v_add_f16_e32 v9, v3, v22
	v_mov_b32_e32 v3, v6
	v_mov_b32_e32 v6, s13
	v_add_u32_e32 v10, 0x546, v12
	v_addc_co_u32_e32 v1, vcc, v6, v1, vcc
	v_mad_u64_u32 v[6:7], s[0:1], s2, v10, 0
	v_pack_b32_f16 v22, v9, v8
	v_lshlrev_b64 v[2:3], 2, v[2:3]
	v_mad_u64_u32 v[7:8], s[0:1], s3, v10, v[7:8]
	v_add_u32_e32 v10, 0xa8c, v12
	v_mad_u64_u32 v[8:9], s[0:1], s2, v10, 0
	v_add_co_u32_e32 v2, vcc, v0, v2
	v_addc_co_u32_e32 v3, vcc, v1, v3, vcc
	global_store_dword v[2:3], v22, off
	v_lshlrev_b64 v[2:3], 2, v[6:7]
	v_mov_b32_e32 v6, v9
	v_mad_u64_u32 v[6:7], s[0:1], s3, v10, v[6:7]
	v_fma_f16 v69, v68, s5, v58
	v_fma_f16 v58, v68, s4, v58
	v_add_co_u32_e32 v2, vcc, v0, v2
	v_addc_co_u32_e32 v3, vcc, v1, v3, vcc
	v_pack_b32_f16 v7, v58, v37
	v_mov_b32_e32 v9, v6
	global_store_dword v[2:3], v7, off
	v_lshlrev_b64 v[2:3], 2, v[8:9]
	v_add_u32_e32 v8, 0x87, v12
	v_mad_u64_u32 v[6:7], s[0:1], s2, v8, 0
	v_pack_b32_f16 v10, v69, v11
	v_add_u32_e32 v11, 0x5cd, v12
	v_mad_u64_u32 v[7:8], s[0:1], s3, v8, v[7:8]
	v_mad_u64_u32 v[8:9], s[0:1], s2, v11, 0
	v_add_co_u32_e32 v2, vcc, v0, v2
	v_addc_co_u32_e32 v3, vcc, v1, v3, vcc
	global_store_dword v[2:3], v10, off
	v_lshlrev_b64 v[2:3], 2, v[6:7]
	v_mov_b32_e32 v6, v9
	v_mad_u64_u32 v[6:7], s[0:1], s3, v11, v[6:7]
	v_add_co_u32_e32 v2, vcc, v0, v2
	v_addc_co_u32_e32 v3, vcc, v1, v3, vcc
	v_pack_b32_f16 v7, v54, v23
	v_mov_b32_e32 v9, v6
	global_store_dword v[2:3], v7, off
	v_lshlrev_b64 v[2:3], 2, v[8:9]
	v_add_u32_e32 v8, 0xb13, v12
	v_mad_u64_u32 v[6:7], s[0:1], s2, v8, 0
	v_add_u32_e32 v11, 0x10e, v12
	v_add_co_u32_e32 v2, vcc, v0, v2
	v_mad_u64_u32 v[7:8], s[0:1], s3, v8, v[7:8]
	v_mad_u64_u32 v[8:9], s[0:1], s2, v11, 0
	v_addc_co_u32_e32 v3, vcc, v1, v3, vcc
	v_pack_b32_f16 v10, v56, v36
	global_store_dword v[2:3], v10, off
	v_lshlrev_b64 v[2:3], 2, v[6:7]
	v_mov_b32_e32 v6, v9
	v_mad_u64_u32 v[6:7], s[0:1], s3, v11, v[6:7]
	v_add_co_u32_e32 v2, vcc, v0, v2
	v_addc_co_u32_e32 v3, vcc, v1, v3, vcc
	v_pack_b32_f16 v7, v43, v34
	v_mov_b32_e32 v9, v6
	global_store_dword v[2:3], v7, off
	v_lshlrev_b64 v[2:3], 2, v[8:9]
	v_add_u32_e32 v8, 0x654, v12
	v_mad_u64_u32 v[6:7], s[0:1], s2, v8, 0
	v_add_u32_e32 v11, 0xb9a, v12
	v_add_co_u32_e32 v2, vcc, v0, v2
	v_mad_u64_u32 v[7:8], s[0:1], s3, v8, v[7:8]
	v_mad_u64_u32 v[8:9], s[0:1], s2, v11, 0
	v_addc_co_u32_e32 v3, vcc, v1, v3, vcc
	v_pack_b32_f16 v10, v35, v24
	global_store_dword v[2:3], v10, off
	v_lshlrev_b64 v[2:3], 2, v[6:7]
	v_mov_b32_e32 v6, v9
	v_mad_u64_u32 v[6:7], s[0:1], s3, v11, v[6:7]
	v_fma_f16 v51, v74, s4, v40
	v_fma_f16 v40, v74, s5, v40
	v_add_co_u32_e32 v2, vcc, v0, v2
	v_addc_co_u32_e32 v3, vcc, v1, v3, vcc
	v_pack_b32_f16 v7, v55, v40
	v_mov_b32_e32 v9, v6
	global_store_dword v[2:3], v7, off
	v_lshlrev_b64 v[2:3], 2, v[8:9]
	v_add_u32_e32 v8, 0x195, v12
	v_mad_u64_u32 v[6:7], s[0:1], s2, v8, 0
	v_add_u32_e32 v11, 0x6db, v12
	v_add_co_u32_e32 v2, vcc, v0, v2
	v_mad_u64_u32 v[7:8], s[0:1], s3, v8, v[7:8]
	v_mad_u64_u32 v[8:9], s[0:1], s2, v11, 0
	v_addc_co_u32_e32 v3, vcc, v1, v3, vcc
	v_pack_b32_f16 v10, v57, v51
	global_store_dword v[2:3], v10, off
	v_lshlrev_b64 v[2:3], 2, v[6:7]
	v_mov_b32_e32 v6, v9
	v_mad_u64_u32 v[6:7], s[0:1], s3, v11, v[6:7]
	v_add_co_u32_e32 v2, vcc, v0, v2
	v_addc_co_u32_e32 v3, vcc, v1, v3, vcc
	v_pack_b32_f16 v7, v67, v61
	v_mov_b32_e32 v9, v6
	global_store_dword v[2:3], v7, off
	v_lshlrev_b64 v[2:3], 2, v[8:9]
	v_add_u32_e32 v8, 0xc21, v12
	v_mad_u64_u32 v[6:7], s[0:1], s2, v8, 0
	v_add_u32_e32 v11, 0x21c, v12
	v_add_co_u32_e32 v2, vcc, v0, v2
	v_mad_u64_u32 v[7:8], s[0:1], s3, v8, v[7:8]
	v_mad_u64_u32 v[8:9], s[0:1], s2, v11, 0
	v_addc_co_u32_e32 v3, vcc, v1, v3, vcc
	v_pack_b32_f16 v10, v44, v53
	global_store_dword v[2:3], v10, off
	v_lshlrev_b64 v[2:3], 2, v[6:7]
	v_mov_b32_e32 v6, v9
	v_mad_u64_u32 v[6:7], s[0:1], s3, v11, v[6:7]
	;; [unrolled: 18-line block ×4, first 2 shown]
	v_add_co_u32_e32 v2, vcc, v0, v2
	v_addc_co_u32_e32 v3, vcc, v1, v3, vcc
	v_pack_b32_f16 v7, v64, v62
	v_mov_b32_e32 v9, v6
	global_store_dword v[2:3], v7, off
	v_lshlrev_b64 v[2:3], 2, v[8:9]
	v_add_u32_e32 v8, 0xd2f, v12
	v_mad_u64_u32 v[6:7], s[0:1], s2, v8, 0
	s_mov_b32 s4, 0xc22e4507
	v_add_co_u32_e32 v2, vcc, v0, v2
	v_mad_u64_u32 v[7:8], s[0:1], s3, v8, v[7:8]
	v_add_u32_e32 v8, 0x32a, v12
	v_mul_hi_u32 v10, v8, s4
	v_addc_co_u32_e32 v3, vcc, v1, v3, vcc
	v_pack_b32_f16 v9, v46, v50
	global_store_dword v[2:3], v9, off
	v_lshlrev_b64 v[2:3], 2, v[6:7]
	v_lshrrev_b32_e32 v6, 10, v10
	v_mad_u32_u24 v10, v6, s6, v8
	v_mad_u64_u32 v[6:7], s[0:1], s2, v10, 0
	v_add_u32_e32 v22, 0x546, v10
	v_add_co_u32_e32 v2, vcc, v0, v2
	v_mad_u64_u32 v[7:8], s[0:1], s3, v10, v[7:8]
	v_mad_u64_u32 v[8:9], s[0:1], s2, v22, 0
	v_addc_co_u32_e32 v3, vcc, v1, v3, vcc
	v_pack_b32_f16 v11, v47, v59
	global_store_dword v[2:3], v11, off
	v_lshlrev_b64 v[2:3], 2, v[6:7]
	v_mov_b32_e32 v6, v9
	v_mad_u64_u32 v[6:7], s[0:1], s3, v22, v[6:7]
	v_add_co_u32_e32 v2, vcc, v0, v2
	v_addc_co_u32_e32 v3, vcc, v1, v3, vcc
	v_pack_b32_f16 v7, v42, v41
	v_mov_b32_e32 v9, v6
	global_store_dword v[2:3], v7, off
	v_lshlrev_b64 v[2:3], 2, v[8:9]
	v_add_u32_e32 v8, 0xa8c, v10
	v_mad_u64_u32 v[6:7], s[0:1], s2, v8, 0
	v_add_co_u32_e32 v2, vcc, v0, v2
	v_mad_u64_u32 v[7:8], s[0:1], s3, v8, v[7:8]
	v_add_u32_e32 v8, 0x3b1, v12
	v_mul_hi_u32 v10, v8, s4
	v_addc_co_u32_e32 v3, vcc, v1, v3, vcc
	v_pack_b32_f16 v9, v39, v13
	global_store_dword v[2:3], v9, off
	v_lshlrev_b64 v[2:3], 2, v[6:7]
	v_lshrrev_b32_e32 v6, 10, v10
	v_mad_u32_u24 v10, v6, s6, v8
	v_mad_u64_u32 v[6:7], s[0:1], s2, v10, 0
	v_pack_b32_f16 v11, v5, v4
	v_add_co_u32_e32 v2, vcc, v0, v2
	v_mov_b32_e32 v4, v7
	v_mad_u64_u32 v[4:5], s[0:1], s3, v10, v[4:5]
	v_add_u32_e32 v5, 0x546, v10
	v_mad_u64_u32 v[8:9], s[0:1], s2, v5, 0
	v_addc_co_u32_e32 v3, vcc, v1, v3, vcc
	v_mov_b32_e32 v7, v4
	v_mov_b32_e32 v4, v9
	global_store_dword v[2:3], v11, off
	v_lshlrev_b64 v[2:3], 2, v[6:7]
	v_mad_u64_u32 v[4:5], s[0:1], s3, v5, v[4:5]
	v_add_co_u32_e32 v2, vcc, v0, v2
	v_addc_co_u32_e32 v3, vcc, v1, v3, vcc
	v_pack_b32_f16 v5, v38, v33
	v_add_u32_e32 v6, 0xa8c, v10
	global_store_dword v[2:3], v5, off
	v_mov_b32_e32 v9, v4
	v_mad_u64_u32 v[4:5], s[0:1], s2, v6, 0
	v_lshlrev_b64 v[2:3], 2, v[8:9]
	v_pack_b32_f16 v7, v32, v25
	v_mad_u64_u32 v[5:6], s[0:1], s3, v6, v[5:6]
	v_add_u32_e32 v6, 0x438, v12
	v_mul_hi_u32 v8, v6, s4
	v_add_co_u32_e32 v2, vcc, v0, v2
	v_addc_co_u32_e32 v3, vcc, v1, v3, vcc
	global_store_dword v[2:3], v7, off
	v_lshlrev_b64 v[2:3], 2, v[4:5]
	v_lshrrev_b32_e32 v4, 10, v8
	v_mad_u32_u24 v8, v4, s6, v6
	v_mad_u64_u32 v[4:5], s[0:1], s2, v8, 0
	v_add_u32_e32 v10, 0x546, v8
	v_add_co_u32_e32 v2, vcc, v0, v2
	v_mad_u64_u32 v[5:6], s[0:1], s3, v8, v[5:6]
	v_mad_u64_u32 v[6:7], s[0:1], s2, v10, 0
	v_addc_co_u32_e32 v3, vcc, v1, v3, vcc
	v_pack_b32_f16 v9, v16, v15
	global_store_dword v[2:3], v9, off
	v_lshlrev_b64 v[2:3], 2, v[4:5]
	v_mov_b32_e32 v4, v7
	v_mad_u64_u32 v[4:5], s[0:1], s3, v10, v[4:5]
	v_add_co_u32_e32 v2, vcc, v0, v2
	v_addc_co_u32_e32 v3, vcc, v1, v3, vcc
	v_pack_b32_f16 v5, v31, v30
	v_mov_b32_e32 v7, v4
	global_store_dword v[2:3], v5, off
	v_lshlrev_b64 v[2:3], 2, v[6:7]
	v_add_u32_e32 v6, 0xa8c, v8
	v_mad_u64_u32 v[4:5], s[0:1], s2, v6, 0
	v_add_u32_e32 v7, 0x4bf, v12
	v_mul_hi_u32 v9, v7, s4
	v_mad_u64_u32 v[5:6], s[0:1], s3, v6, v[5:6]
	v_add_co_u32_e32 v2, vcc, v0, v2
	v_lshrrev_b32_e32 v6, 10, v9
	v_mad_u32_u24 v9, v6, s6, v7
	v_mad_u64_u32 v[6:7], s[0:1], s2, v9, 0
	v_addc_co_u32_e32 v3, vcc, v1, v3, vcc
	v_pack_b32_f16 v8, v29, v28
	global_store_dword v[2:3], v8, off
	v_lshlrev_b64 v[2:3], 2, v[4:5]
	v_mov_b32_e32 v4, v7
	v_mad_u64_u32 v[4:5], s[0:1], s3, v9, v[4:5]
	v_add_co_u32_e32 v2, vcc, v0, v2
	v_addc_co_u32_e32 v3, vcc, v1, v3, vcc
	v_pack_b32_f16 v5, v27, v26
	v_mov_b32_e32 v7, v4
	global_store_dword v[2:3], v5, off
	v_lshlrev_b64 v[2:3], 2, v[6:7]
	v_add_u32_e32 v6, 0x546, v9
	v_mad_u64_u32 v[4:5], s[0:1], s2, v6, 0
	v_add_u32_e32 v9, 0xa8c, v9
	v_add_co_u32_e32 v2, vcc, v0, v2
	v_mad_u64_u32 v[5:6], s[0:1], s3, v6, v[5:6]
	v_mad_u64_u32 v[6:7], s[0:1], s2, v9, 0
	v_addc_co_u32_e32 v3, vcc, v1, v3, vcc
	v_pack_b32_f16 v8, v21, v20
	global_store_dword v[2:3], v8, off
	v_lshlrev_b64 v[2:3], 2, v[4:5]
	v_mov_b32_e32 v4, v7
	v_mad_u64_u32 v[4:5], s[0:1], s3, v9, v[4:5]
	v_add_co_u32_e32 v2, vcc, v0, v2
	v_addc_co_u32_e32 v3, vcc, v1, v3, vcc
	v_pack_b32_f16 v5, v19, v18
	v_mov_b32_e32 v7, v4
	global_store_dword v[2:3], v5, off
	v_lshlrev_b64 v[2:3], 2, v[6:7]
	v_add_co_u32_e32 v0, vcc, v0, v2
	v_addc_co_u32_e32 v1, vcc, v1, v3, vcc
	v_pack_b32_f16 v2, v17, v14
	global_store_dword v[0:1], v2, off
.LBB0_15:
	s_endpgm
	.section	.rodata,"a",@progbits
	.p2align	6, 0x0
	.amdhsa_kernel fft_rtc_fwd_len4050_factors_10_5_3_3_3_3_wgs_135_tpt_135_halfLds_half_ip_CI_sbrr_dirReg
		.amdhsa_group_segment_fixed_size 0
		.amdhsa_private_segment_fixed_size 0
		.amdhsa_kernarg_size 88
		.amdhsa_user_sgpr_count 6
		.amdhsa_user_sgpr_private_segment_buffer 1
		.amdhsa_user_sgpr_dispatch_ptr 0
		.amdhsa_user_sgpr_queue_ptr 0
		.amdhsa_user_sgpr_kernarg_segment_ptr 1
		.amdhsa_user_sgpr_dispatch_id 0
		.amdhsa_user_sgpr_flat_scratch_init 0
		.amdhsa_user_sgpr_private_segment_size 0
		.amdhsa_uses_dynamic_stack 0
		.amdhsa_system_sgpr_private_segment_wavefront_offset 0
		.amdhsa_system_sgpr_workgroup_id_x 1
		.amdhsa_system_sgpr_workgroup_id_y 0
		.amdhsa_system_sgpr_workgroup_id_z 0
		.amdhsa_system_sgpr_workgroup_info 0
		.amdhsa_system_vgpr_workitem_id 0
		.amdhsa_next_free_vgpr 131
		.amdhsa_next_free_sgpr 24
		.amdhsa_reserve_vcc 1
		.amdhsa_reserve_flat_scratch 0
		.amdhsa_float_round_mode_32 0
		.amdhsa_float_round_mode_16_64 0
		.amdhsa_float_denorm_mode_32 3
		.amdhsa_float_denorm_mode_16_64 3
		.amdhsa_dx10_clamp 1
		.amdhsa_ieee_mode 1
		.amdhsa_fp16_overflow 0
		.amdhsa_exception_fp_ieee_invalid_op 0
		.amdhsa_exception_fp_denorm_src 0
		.amdhsa_exception_fp_ieee_div_zero 0
		.amdhsa_exception_fp_ieee_overflow 0
		.amdhsa_exception_fp_ieee_underflow 0
		.amdhsa_exception_fp_ieee_inexact 0
		.amdhsa_exception_int_div_zero 0
	.end_amdhsa_kernel
	.text
.Lfunc_end0:
	.size	fft_rtc_fwd_len4050_factors_10_5_3_3_3_3_wgs_135_tpt_135_halfLds_half_ip_CI_sbrr_dirReg, .Lfunc_end0-fft_rtc_fwd_len4050_factors_10_5_3_3_3_3_wgs_135_tpt_135_halfLds_half_ip_CI_sbrr_dirReg
                                        ; -- End function
	.section	.AMDGPU.csdata,"",@progbits
; Kernel info:
; codeLenInByte = 23752
; NumSgprs: 28
; NumVgprs: 131
; ScratchSize: 0
; MemoryBound: 0
; FloatMode: 240
; IeeeMode: 1
; LDSByteSize: 0 bytes/workgroup (compile time only)
; SGPRBlocks: 3
; VGPRBlocks: 32
; NumSGPRsForWavesPerEU: 28
; NumVGPRsForWavesPerEU: 131
; Occupancy: 1
; WaveLimiterHint : 1
; COMPUTE_PGM_RSRC2:SCRATCH_EN: 0
; COMPUTE_PGM_RSRC2:USER_SGPR: 6
; COMPUTE_PGM_RSRC2:TRAP_HANDLER: 0
; COMPUTE_PGM_RSRC2:TGID_X_EN: 1
; COMPUTE_PGM_RSRC2:TGID_Y_EN: 0
; COMPUTE_PGM_RSRC2:TGID_Z_EN: 0
; COMPUTE_PGM_RSRC2:TIDIG_COMP_CNT: 0
	.type	__hip_cuid_4d2c8f29ede781f0,@object ; @__hip_cuid_4d2c8f29ede781f0
	.section	.bss,"aw",@nobits
	.globl	__hip_cuid_4d2c8f29ede781f0
__hip_cuid_4d2c8f29ede781f0:
	.byte	0                               ; 0x0
	.size	__hip_cuid_4d2c8f29ede781f0, 1

	.ident	"AMD clang version 19.0.0git (https://github.com/RadeonOpenCompute/llvm-project roc-6.4.0 25133 c7fe45cf4b819c5991fe208aaa96edf142730f1d)"
	.section	".note.GNU-stack","",@progbits
	.addrsig
	.addrsig_sym __hip_cuid_4d2c8f29ede781f0
	.amdgpu_metadata
---
amdhsa.kernels:
  - .args:
      - .actual_access:  read_only
        .address_space:  global
        .offset:         0
        .size:           8
        .value_kind:     global_buffer
      - .offset:         8
        .size:           8
        .value_kind:     by_value
      - .actual_access:  read_only
        .address_space:  global
        .offset:         16
        .size:           8
        .value_kind:     global_buffer
      - .actual_access:  read_only
        .address_space:  global
        .offset:         24
        .size:           8
        .value_kind:     global_buffer
      - .offset:         32
        .size:           8
        .value_kind:     by_value
      - .actual_access:  read_only
        .address_space:  global
        .offset:         40
        .size:           8
        .value_kind:     global_buffer
      - .actual_access:  read_only
        .address_space:  global
        .offset:         48
        .size:           8
        .value_kind:     global_buffer
      - .offset:         56
        .size:           4
        .value_kind:     by_value
      - .actual_access:  read_only
        .address_space:  global
        .offset:         64
        .size:           8
        .value_kind:     global_buffer
      - .actual_access:  read_only
        .address_space:  global
        .offset:         72
        .size:           8
        .value_kind:     global_buffer
      - .address_space:  global
        .offset:         80
        .size:           8
        .value_kind:     global_buffer
    .group_segment_fixed_size: 0
    .kernarg_segment_align: 8
    .kernarg_segment_size: 88
    .language:       OpenCL C
    .language_version:
      - 2
      - 0
    .max_flat_workgroup_size: 135
    .name:           fft_rtc_fwd_len4050_factors_10_5_3_3_3_3_wgs_135_tpt_135_halfLds_half_ip_CI_sbrr_dirReg
    .private_segment_fixed_size: 0
    .sgpr_count:     28
    .sgpr_spill_count: 0
    .symbol:         fft_rtc_fwd_len4050_factors_10_5_3_3_3_3_wgs_135_tpt_135_halfLds_half_ip_CI_sbrr_dirReg.kd
    .uniform_work_group_size: 1
    .uses_dynamic_stack: false
    .vgpr_count:     131
    .vgpr_spill_count: 0
    .wavefront_size: 64
amdhsa.target:   amdgcn-amd-amdhsa--gfx906
amdhsa.version:
  - 1
  - 2
...

	.end_amdgpu_metadata
